;; amdgpu-corpus repo=ROCm/aiter kind=harvested arch=n/a opt=n/a

/root/src/amdgpu-assembly/repos/ROCm__aiter/hsa/gfx950/fmoe_2stages/fmoe_stage1_bf16_pertokenFp8_blockscale_g1u1_32x128_3tg_pf3.co:	file format elf64-amdgpu

Disassembly of section .text:

0000000000002a00 <_ZN5aiter59fmoe_stage1_bf16_pertokenFp8_blockscale_g1u1_32x128_3tg_pf3E>:
	s_and_b32 s1, s1, 0xffff                                   // 000000002A00: 8601FF01 0000FFFF
	s_load_dwordx2 s[8:9], s[0:1], 0x0                         // 000000002A08: C0060200 00000000
	s_load_dwordx2 s[20:21], s[0:1], 0x10                      // 000000002A10: C0060500 00000010
	s_load_dwordx2 s[24:25], s[0:1], 0x20                      // 000000002A18: C0060600 00000020
	s_load_dwordx2 s[48:49], s[0:1], 0x30                      // 000000002A20: C0060C00 00000030
	s_load_dwordx2 s[28:29], s[0:1], 0x40                      // 000000002A28: C0060700 00000040
	s_load_dwordx2 s[32:33], s[0:1], 0x50                      // 000000002A30: C0060800 00000050
	s_load_dwordx2 s[36:37], s[0:1], 0x60                      // 000000002A38: C0060900 00000060
	s_load_dwordx2 s[12:13], s[0:1], 0x70                      // 000000002A40: C0060300 00000070
	s_load_dwordx2 s[44:45], s[0:1], 0x80                      // 000000002A48: C0060B00 00000080
	s_mov_b32 s89, 0                                           // 000000002A50: BED90080
	s_load_dword s64, s[0:1], 0x90                             // 000000002A54: C0021000 00000090
	s_load_dword s65, s[0:1], 0xa0                             // 000000002A5C: C0021040 000000A0
	s_load_dword s66, s[0:1], 0xb0                             // 000000002A64: C0021080 000000B0
	s_load_dword s67, s[0:1], 0xc0                             // 000000002A6C: C00210C0 000000C0
	s_load_dword s68, s[0:1], 0xd0                             // 000000002A74: C0021100 000000D0
	s_load_dword s69, s[0:1], 0xe0                             // 000000002A7C: C0021140 000000E0
	s_load_dword s71, s[0:1], 0xf0                             // 000000002A84: C00211C0 000000F0
	s_load_dword s72, s[0:1], 0x100                            // 000000002A8C: C0021200 00000100
	s_load_dword s74, s[0:1], 0x110                            // 000000002A94: C0021280 00000110
	s_load_dword s76, s[0:1], 0x120                            // 000000002A9C: C0021300 00000120
	s_load_dword s56, s[0:1], 0x130                            // 000000002AA4: C0020E00 00000130
	s_load_dword s88, s[0:1], 0x140                            // 000000002AAC: C0021600 00000140
	s_load_dword s89, s[0:1], 0x150                            // 000000002AB4: C0021640 00000150
	v_lshrrev_b32_e32 v1, 10, v0                               // 000000002ABC: 2002008A
	v_lshrrev_b32_e32 v2, 10, v1                               // 000000002AC0: 2004028A
	v_and_b32_e32 v2, 0x3ff, v2                                // 000000002AC4: 260404FF 000003FF
	v_and_b32_e32 v1, 0x3ff, v1                                // 000000002ACC: 260202FF 000003FF
	v_and_b32_e32 v0, 0x3ff, v0                                // 000000002AD4: 260000FF 000003FF
	v_lshrrev_b32_e32 v3, 6, v0                                // 000000002ADC: 20060086
	v_and_b32_e32 v0, 63, v0                                   // 000000002AE0: 260000BF
	s_mov_b32 s2, s2                                           // 000000002AE4: BE820002
	s_mov_b32 s3, s3                                           // 000000002AE8: BE830003
	s_mov_b32 s4, s4                                           // 000000002AEC: BE840004
	v_readfirstlane_b32 s7, v3                                 // 000000002AF0: 7E0E0503
	s_waitcnt lgkmcnt(0)                                       // 000000002AF4: BF8CC07F
	s_and_b32 s49, s49, 0xffff                                 // 000000002AF8: 8631FF31 0000FFFF
	s_load_dword s48, s[48:49], 0x0                            // 000000002B00: C0020C18 00000000
	s_and_b32 s45, s45, 0xffff                                 // 000000002B08: 862DFF2D 0000FFFF
	s_and_b32 s9, s9, 0xffff                                   // 000000002B10: 8609FF09 0000FFFF
	s_mul_i32 s60, s66, s68                                    // 000000002B18: 923C4442
	s_mul_i32 s61, s66, 4                                      // 000000002B1C: 923D8442
	s_mov_b32 s22, s60                                         // 000000002B20: BE96003C
	s_mov_b32 s26, -16                                         // 000000002B24: BE9A00D0
	s_mov_b32 s30, s61                                         // 000000002B28: BE9E003D
	s_mov_b32 s14, 0x80                                        // 000000002B2C: BE8E00FF 00000080
	s_mov_b32 s38, -16                                         // 000000002B34: BEA600D0
	s_mov_b32 s10, -16                                         // 000000002B38: BE8A00D0
	s_lshr_b32 s60, s64, 7                                     // 000000002B3C: 8F3C8740
	s_mul_i32 s61, s60, 4                                      // 000000002B40: 923D843C
	s_lshr_b32 s60, s65, 7                                     // 000000002B44: 8F3C8741
	s_add_u32 s60, s60, 1                                      // 000000002B48: 803C813C
	s_mul_i32 s60, s60, s61                                    // 000000002B4C: 923C3D3C
	s_mov_b32 s34, s60                                         // 000000002B50: BEA2003C
	s_mov_b32 s23, 0x20000                                     // 000000002B54: BE9700FF 00020000
	s_mov_b32 s27, 0x20000                                     // 000000002B5C: BE9B00FF 00020000
	s_mov_b32 s31, 0x20000                                     // 000000002B64: BE9F00FF 00020000
	s_mov_b32 s35, 0x20000                                     // 000000002B6C: BEA300FF 00020000
	s_mov_b32 s15, 0x20000                                     // 000000002B74: BE8F00FF 00020000
	s_mov_b32 s39, 0x20000                                     // 000000002B7C: BEA700FF 00020000
	s_mov_b32 s11, 0x20000                                     // 000000002B84: BE8B00FF 00020000
	s_and_b32 s21, s21, 0xffff                                 // 000000002B8C: 8615FF15 0000FFFF
	s_and_b32 s25, s25, 0xffff                                 // 000000002B94: 8619FF19 0000FFFF
	s_and_b32 s29, s29, 0xffff                                 // 000000002B9C: 861DFF1D 0000FFFF
	s_and_b32 s33, s33, 0xffff                                 // 000000002BA4: 8621FF21 0000FFFF
	s_and_b32 s13, s13, 0xffff                                 // 000000002BAC: 860DFF0D 0000FFFF
	s_and_b32 s37, s37, 0xffff                                 // 000000002BB4: 8625FF25 0000FFFF
	s_or_b32 s21, s21, 0x40000                                 // 000000002BBC: 8715FF15 00040000
	s_or_b32 s25, s25, 0x40000                                 // 000000002BC4: 8719FF19 00040000
	s_or_b32 s29, s29, 0x40000                                 // 000000002BCC: 871DFF1D 00040000
	s_or_b32 s33, s33, 0x40000                                 // 000000002BD4: 8721FF21 00040000
	s_or_b32 s13, s13, 0x40000                                 // 000000002BDC: 870DFF0D 00040000
	s_or_b32 s37, s37, 0x40000                                 // 000000002BE4: 8725FF25 00040000
	v_accvgpr_write_b32 a79, 0                                 // 000000002BEC: D3D9404F 18000080
	v_mov_b32_e32 v75, 0                                       // 000000002BF4: 7E960280
	s_waitcnt lgkmcnt(0)                                       // 000000002BF8: BF8CC07F
	s_mul_i32 s60, s3, 32                                      // 000000002BFC: 923CA003
	s_cmp_lt_i32 s60, s48                                      // 000000002C00: BF04303C
	s_cbranch_scc0 label_15F6                                  // 000000002C04: BF841571
	s_mov_b32 s80, 0                                           // 000000002C08: BED00080
	s_lshr_b32 s81, s64, s88                                   // 000000002C0C: 8F515840
	s_mul_i32 s60, s3, 4                                       // 000000002C10: 923C8403
	s_add_u32 s44, s60, s44                                    // 000000002C14: 802C2C3C
	s_addc_u32 s45, 0, s45                                     // 000000002C18: 822D2D80
	s_load_dword s5, s[44:45], 0x0                             // 000000002C1C: C0020156 00000000
	s_mul_i32 s60, s3, 32                                      // 000000002C24: 923CA003
	s_mul_i32 s60, 4, s60                                      // 000000002C28: 923C3C84
	s_add_u32 s12, s60, s12                                    // 000000002C2C: 800C0C3C
	s_addc_u32 s13, 0, s13                                     // 000000002C30: 820D0D80
	v_and_b32_e32 v4, 15, v0                                   // 000000002C34: 2608008F
	v_lshlrev_b32_e32 v4, 2, v4                                // 000000002C38: 24080882
	buffer_load_dword v30, v4, s[12:15], 0 offen               // 000000002C3C: E0501000 80031E04
	v_add_u32_e32 v4, 64, v4                                   // 000000002C44: 680808C0
	buffer_load_dword v31, v4, s[12:15], 0 offen               // 000000002C48: E0501000 80031F04
	v_add_u32_e32 v4, 64, v4                                   // 000000002C50: 680808C0
	s_mul_i32 s60, 4, s7                                       // 000000002C54: 923C0784
	v_lshlrev_b32_e32 v4, 4, v0                                // 000000002C58: 24080084
	v_add_u32_e32 v4, s60, v4                                  // 000000002C5C: 6808083C
	buffer_load_dword v3, v4, s[12:15], 0 offen                // 000000002C60: E0501000 80030304
	v_mov_b32_e32 v44, 0                                       // 000000002C68: 7E580280
	v_mov_b32_e32 v60, 0                                       // 000000002C6C: 7E780280
	v_mov_b32_e32 v45, 0                                       // 000000002C70: 7E5A0280
	v_mov_b32_e32 v61, 0                                       // 000000002C74: 7E7A0280
	v_mov_b32_e32 v46, 0                                       // 000000002C78: 7E5C0280
	v_mov_b32_e32 v62, 0                                       // 000000002C7C: 7E7C0280
	v_mov_b32_e32 v47, 0                                       // 000000002C80: 7E5E0280
	v_mov_b32_e32 v63, 0                                       // 000000002C84: 7E7E0280
	v_mov_b32_e32 v48, 0                                       // 000000002C88: 7E600280
	v_mov_b32_e32 v64, 0                                       // 000000002C8C: 7E800280
	v_mov_b32_e32 v49, 0                                       // 000000002C90: 7E620280
	v_mov_b32_e32 v65, 0                                       // 000000002C94: 7E820280
	v_mov_b32_e32 v50, 0                                       // 000000002C98: 7E640280
	v_mov_b32_e32 v66, 0                                       // 000000002C9C: 7E840280
	v_mov_b32_e32 v51, 0                                       // 000000002CA0: 7E660280
	v_mov_b32_e32 v67, 0                                       // 000000002CA4: 7E860280
	v_mov_b32_e32 v52, 0                                       // 000000002CA8: 7E680280
	v_mov_b32_e32 v68, 0                                       // 000000002CAC: 7E880280
	v_mov_b32_e32 v53, 0                                       // 000000002CB0: 7E6A0280
	v_mov_b32_e32 v69, 0                                       // 000000002CB4: 7E8A0280
	v_mov_b32_e32 v54, 0                                       // 000000002CB8: 7E6C0280
	v_mov_b32_e32 v70, 0                                       // 000000002CBC: 7E8C0280
	v_mov_b32_e32 v55, 0                                       // 000000002CC0: 7E6E0280
	v_mov_b32_e32 v71, 0                                       // 000000002CC4: 7E8E0280
	v_mov_b32_e32 v56, 0                                       // 000000002CC8: 7E700280
	v_mov_b32_e32 v72, 0                                       // 000000002CCC: 7E900280
	v_mov_b32_e32 v57, 0                                       // 000000002CD0: 7E720280
	v_mov_b32_e32 v73, 0                                       // 000000002CD4: 7E920280
	v_mov_b32_e32 v58, 0                                       // 000000002CD8: 7E740280
	v_mov_b32_e32 v74, 0                                       // 000000002CDC: 7E940280
	v_mov_b32_e32 v59, 0                                       // 000000002CE0: 7E760280
	v_mov_b32_e32 v75, 0                                       // 000000002CE4: 7E960280
	s_mul_i32 s60, s2, 0x80                                    // 000000002CE8: 923CFF02 00000080
	s_cmp_eq_u32 s88, 0                                        // 000000002CF0: BF068058
	s_cselect_b32 s61, 1, 4                                    // 000000002CF4: 853D8481
	s_mul_i32 s60, s60, s61                                    // 000000002CF8: 923C3D3C
	s_mov_b32 s90, s8                                          // 000000002CFC: BEDA0008
	s_mov_b32 s91, s9                                          // 000000002D00: BEDB0009
	s_add_u32 s8, s60, s8                                      // 000000002D04: 8008083C
	s_addc_u32 s9, 0, s9                                       // 000000002D08: 82090980
	v_lshrrev_b32_e32 v4, 4, v0                                // 000000002D0C: 20080084
	v_mul_lo_u32 v20, 34, v4                                   // 000000002D10: D2850014 000208A2
	v_and_b32_e32 v4, 15, v0                                   // 000000002D18: 2608008F
	v_mul_lo_u32 v5, 2, v4                                     // 000000002D1C: D2850005 00020882
	v_add_u32_e32 v20, v5, v20                                 // 000000002D24: 68282905
	s_mul_i32 s60, s7, 0x88                                    // 000000002D28: 923CFF07 00000088
	v_add_u32_e32 v20, s60, v20                                // 000000002D30: 6828283C
	v_lshlrev_b32_e32 v20, 2, v20                              // 000000002D34: 24282882
	v_and_b32_e32 v4, 31, v0                                   // 000000002D38: 2608009F
	v_lshrrev_b32_e32 v4, 1, v4                                // 000000002D3C: 20080881
	v_mul_lo_u32 v21, 34, v4                                   // 000000002D40: D2850015 000208A2
	v_lshrrev_b32_e32 v4, 5, v0                                // 000000002D48: 20080085
	v_mul_lo_u32 v4, 8, v4                                     // 000000002D4C: D2850004 00020888
	v_add_u32_e32 v21, v21, v4                                 // 000000002D54: 682A0915
	v_and_b32_e32 v5, 1, v0                                    // 000000002D58: 260A0081
	v_add_u32_e32 v21, v5, v21                                 // 000000002D5C: 682A2B05
	s_mul_i32 s60, s7, 2                                       // 000000002D60: 923C8207
	v_add_u32_e32 v21, s60, v21                                // 000000002D64: 682A2A3C
	v_lshlrev_b32_e32 v21, 2, v21                              // 000000002D68: 242A2A82
	s_mul_i32 s60, s7, 0x420                                   // 000000002D6C: 923CFF07 00000420
	s_add_u32 s48, 0, s60                                      // 000000002D74: 80303C80
	s_add_u32 s49, 0x1080, s48                                 // 000000002D78: 803130FF 00001080
	s_add_u32 s50, 0x1080, s49                                 // 000000002D80: 803231FF 00001080
	v_lshrrev_b32_e32 v4, 4, v0                                // 000000002D88: 20080084
	v_lshlrev_b32_e32 v5, 2, v4                                // 000000002D8C: 240A0882
	v_and_b32_e32 v4, 15, v0                                   // 000000002D90: 2608008F
	v_lshrrev_b32_e32 v6, 2, v4                                // 000000002D94: 200C0882
	v_lshlrev_b32_e32 v6, 5, v6                                // 000000002D98: 240C0C85
	v_add_u32_e32 v5, v6, v5                                   // 000000002D9C: 680A0B06
	v_and_b32_e32 v4, 3, v0                                    // 000000002DA0: 26080083
	v_mul_u32_u24_e32 v6, 0x108, v4                            // 000000002DA4: 100C08FF 00000108
	v_add_u32_e32 v5, v6, v5                                   // 000000002DAC: 680A0B06
	v_lshlrev_b32_e32 v2, 2, v5                                // 000000002DB0: 24040A82
	s_waitcnt lgkmcnt(0)                                       // 000000002DB4: BF8CC07F
	s_mul_i32 s60, s2, 0x80                                    // 000000002DB8: 923CFF02 00000080
	s_mul_i32 s60, s60, s69                                    // 000000002DC0: 923C453C
	s_mul_i32 s61, s5, s72                                     // 000000002DC4: 923D4805
	s_add_u32 s60, s61, s60                                    // 000000002DC8: 803C3C3D
	s_add_u32 s24, s60, s24                                    // 000000002DCC: 8018183C
	s_addc_u32 s25, 0, s25                                     // 000000002DD0: 82191980
	s_lshr_b32 s60, s64, s88                                   // 000000002DD4: 8F3C5840
	s_mul_i32 s60, s4, s60                                     // 000000002DD8: 923C3C04
	s_lshr_b32 s60, s60, 7                                     // 000000002DDC: 8F3C873C
	s_mul_i32 s60, s60, 0x800                                  // 000000002DE0: 923CFF3C 00000800
	s_add_u32 s24, s60, s24                                    // 000000002DE8: 8018183C
	s_addc_u32 s25, 0, s25                                     // 000000002DEC: 82191980
	s_lshr_b32 s60, s69, s88                                   // 000000002DF0: 8F3C5845
	s_mul_i32 s60, s4, s60                                     // 000000002DF4: 923C3C04
	s_add_u32 s20, s60, s20                                    // 000000002DF8: 8014143C
	s_addc_u32 s21, 0, s21                                     // 000000002DFC: 82151580
	s_mul_i32 s60, s7, 16                                      // 000000002E00: 923C9007
	s_mul_i32 s60, s60, s69                                    // 000000002E04: 923C453C
	v_lshlrev_b32_e32 v42, 4, v0                               // 000000002E08: 24540084
	v_add_u32_e32 v42, s60, v42                                // 000000002E0C: 6854543C
	s_mul_i32 s60, 64, s69                                     // 000000002E10: 923C45C0
	v_add_u32_e32 v43, s60, v42                                // 000000002E14: 6856543C
	s_mov_b32 s84, s24                                         // 000000002E18: BED40018
	s_mov_b32 s85, s25                                         // 000000002E1C: BED50019
	s_mov_b32 s86, s26                                         // 000000002E20: BED6001A
	s_mov_b32 s87, s27                                         // 000000002E24: BED7001B
	s_mul_i32 s60, s69, s65                                    // 000000002E28: 923C4145
	s_add_u32 s84, s60, s84                                    // 000000002E2C: 8054543C
	s_addc_u32 s85, 0, s85                                     // 000000002E30: 82555580
	s_lshr_b32 s60, s64, 7                                     // 000000002E34: 8F3C8740
	s_mul_i32 s61, s60, 4                                      // 000000002E38: 923D843C
	v_and_b32_e32 v22, 15, v0                                  // 000000002E3C: 262C008F
	v_mul_lo_u32 v22, v22, s61                                 // 000000002E40: D2850016 00007B16
	s_lshr_b32 s60, s65, 7                                     // 000000002E48: 8F3C8741
	s_mul_i32 s60, s60, s61                                    // 000000002E4C: 923C3D3C
	v_add_u32_e64 v23, v22, s60                                // 000000002E50: D1340017 00007916
	s_mul_i32 s60, s2, 1                                       // 000000002E58: 923C8102
	s_mul_i32 s60, s60, s61                                    // 000000002E5C: 923C3D3C
	s_mul_i32 s61, s5, s74                                     // 000000002E60: 923D4A05
	s_add_u32 s61, s61, s60                                    // 000000002E64: 803D3C3D
	s_add_u32 s32, s61, s32                                    // 000000002E68: 8020203D
	s_addc_u32 s33, 0, s33                                     // 000000002E6C: 82212180
	s_lshr_b32 s60, s64, 7                                     // 000000002E70: 8F3C8740
	s_lshr_b32 s60, s60, s88                                   // 000000002E74: 8F3C583C
	s_mul_i32 s60, s4, s60                                     // 000000002E78: 923C3C04
	s_mul_i32 s61, s60, 4                                      // 000000002E7C: 923D843C
	s_add_u32 s32, s61, s32                                    // 000000002E80: 8020203D
	s_addc_u32 s33, 0, s33                                     // 000000002E84: 82212180
	s_lshl_b32 s62, s66, 2                                     // 000000002E88: 8E3E8242
	s_mul_i32 s62, s60, s62                                    // 000000002E8C: 923E3E3C
	s_add_u32 s28, s62, s28                                    // 000000002E90: 801C1C3E
	s_addc_u32 s29, 0, s29                                     // 000000002E94: 821D1D80
	s_mov_b32 s4, 4                                            // 000000002E98: BE840084
	s_mov_b32 s57, 0x80                                        // 000000002E9C: BEB900FF 00000080
	s_mov_b32 s58, 0x800                                       // 000000002EA4: BEBA00FF 00000800
	s_mov_b32 s83, s58                                         // 000000002EAC: BED3003A
	s_mov_b32 s52, 0x7060302                                   // 000000002EB0: BEB400FF 07060302
	s_mov_b32 s53, 0x400                                       // 000000002EB8: BEB500FF 00000400
	s_mov_b32 s54, 0x40100                                     // 000000002EC0: BEB600FF 00040100
	s_mov_b32 s55, 0x4020100                                   // 000000002EC8: BEB700FF 04020100
	s_mov_b32 s6, 0x3fb8aa3b                                   // 000000002ED0: BE8600FF 3FB8AA3B
	s_mov_b32 s78, 0xbd92220c                                  // 000000002ED8: BECE00FF BD92220C
	s_mov_b32 s79, 0xbd92220c                                  // 000000002EE0: BECF00FF BD92220C
	s_mov_b32 m0, s48                                          // 000000002EE8: BEFC0030
	v_mov_b32_e32 v1, 0xbfcc4231                               // 000000002EEC: 7E0202FF BFCC4231
	v_mov_b32_e32 v17, 0xffff0000                              // 000000002EF4: 7E2202FF FFFF0000
	v_mov_b32_e32 v18, 0x7fff0000                              // 000000002EFC: 7E2402FF 7FFF0000
	v_mov_b32_e32 v19, 0x7fff                                  // 000000002F04: 7E2602FF 00007FFF
	s_waitcnt vmcnt(0) expcnt(0) lgkmcnt(0)                    // 000000002F0C: BF8C0000
	v_lshrrev_b32_e32 v4, 5, v0                                // 000000002F10: 20080085
	v_xor_b32_e32 v5, 1, v4                                    // 000000002F14: 2A0A0881
	v_readlane_b32 s82, v3, 0                                  // 000000002F18: D2890052 00010103
	s_and_b32 s82, s82, 0xffffff                               // 000000002F20: 8652FF52 00FFFFFF
	v_mul_lo_u32 v6, v5, s82                                   // 000000002F28: D2850006 0000A505
	v_readlane_b32 s82, v3, 1                                  // 000000002F30: D2890052 00010303
	s_and_b32 s82, s82, 0xffffff                               // 000000002F38: 8652FF52 00FFFFFF
	v_mul_lo_u32 v7, v4, s82                                   // 000000002F40: D2850007 0000A504
	v_add_u32_e32 v38, v6, v7                                  // 000000002F48: 684C0F06
	v_mul_lo_u32 v38, v38, s68                                 // 000000002F4C: D2850026 00008926
	v_readlane_b32 s82, v3, 2                                  // 000000002F54: D2890052 00010503
	s_and_b32 s82, s82, 0xffffff                               // 000000002F5C: 8652FF52 00FFFFFF
	v_mul_lo_u32 v6, v5, s82                                   // 000000002F64: D2850006 0000A505
	v_readlane_b32 s82, v3, 3                                  // 000000002F6C: D2890052 00010703
	s_and_b32 s82, s82, 0xffffff                               // 000000002F74: 8652FF52 00FFFFFF
	v_mul_lo_u32 v7, v4, s82                                   // 000000002F7C: D2850007 0000A504
	v_add_u32_e32 v39, v6, v7                                  // 000000002F84: 684E0F06
	v_mul_lo_u32 v39, v39, s68                                 // 000000002F88: D2850027 00008927
	v_readlane_b32 s82, v3, 4                                  // 000000002F90: D2890052 00010903
	s_and_b32 s82, s82, 0xffffff                               // 000000002F98: 8652FF52 00FFFFFF
	v_mul_lo_u32 v6, v5, s82                                   // 000000002FA0: D2850006 0000A505
	v_readlane_b32 s82, v3, 5                                  // 000000002FA8: D2890052 00010B03
	s_and_b32 s82, s82, 0xffffff                               // 000000002FB0: 8652FF52 00FFFFFF
	v_mul_lo_u32 v7, v4, s82                                   // 000000002FB8: D2850007 0000A504
	v_add_u32_e32 v40, v6, v7                                  // 000000002FC0: 68500F06
	v_mul_lo_u32 v40, v40, s68                                 // 000000002FC4: D2850028 00008928
	v_readlane_b32 s82, v3, 6                                  // 000000002FCC: D2890052 00010D03
	s_and_b32 s82, s82, 0xffffff                               // 000000002FD4: 8652FF52 00FFFFFF
	v_mul_lo_u32 v6, v5, s82                                   // 000000002FDC: D2850006 0000A505
	v_readlane_b32 s82, v3, 7                                  // 000000002FE4: D2890052 00010F03
	s_and_b32 s82, s82, 0xffffff                               // 000000002FEC: 8652FF52 00FFFFFF
	v_mul_lo_u32 v7, v4, s82                                   // 000000002FF4: D2850007 0000A504
	v_add_u32_e32 v41, v6, v7                                  // 000000002FFC: 68520F06
	v_mul_lo_u32 v41, v41, s68                                 // 000000003000: D2850029 00008929
	v_and_b32_e32 v4, 31, v0                                   // 000000003008: 2608009F
	v_lshlrev_b32_e32 v4, 2, v4                                // 00000000300C: 24080882
	v_add_u32_e32 v38, v38, v4                                 // 000000003010: 684C0926
	v_add_u32_e32 v39, v39, v4                                 // 000000003014: 684E0927
	v_add_u32_e32 v40, v40, v4                                 // 000000003018: 68500928
	v_add_u32_e32 v41, v41, v4                                 // 00000000301C: 68520929
	v_and_b32_e32 v30, 0xffffff, v30                           // 000000003020: 263C3CFF 00FFFFFF
	v_lshlrev_b32_e32 v30, 2, v30                              // 000000003028: 243C3C82
	v_and_b32_e32 v31, 0xffffff, v31                           // 00000000302C: 263E3EFF 00FFFFFF
	v_lshlrev_b32_e32 v31, 2, v31                              // 000000003034: 243E3E82
	s_lshl_b32 s3, s66, 2                                      // 000000003038: 8E038242
	buffer_load_dword v38, s[20:23], 0 offen lds               // 00000000303C: E0511000 80050026
	s_add_u32 m0, 0x100, s48                                   // 000000003044: 807C30FF 00000100
	buffer_load_dword v39, s[20:23], 0 offen lds               // 00000000304C: E0511000 80050027
	s_add_u32 m0, 0x200, s48                                   // 000000003054: 807C30FF 00000200
	buffer_load_dword v40, s[20:23], 0 offen lds               // 00000000305C: E0511000 80050028
	s_add_u32 m0, 0x300, s48                                   // 000000003064: 807C30FF 00000300
	buffer_load_dword v41, s[20:23], 0 offen lds               // 00000000306C: E0511000 80050029
	s_add_u32 m0, 0, s49                                       // 000000003074: 807C3180
	s_add_u32 s20, s57, s20                                    // 000000003078: 80141439
	s_addc_u32 s21, 0, s21                                     // 00000000307C: 82151580
	buffer_load_dword v32, v30, s[28:31], 0 offen              // 000000003080: E0501000 8007201E
	buffer_load_dword v33, v31, s[28:31], 0 offen              // 000000003088: E0501000 8007211F
	s_add_u32 s28, s3, s28                                     // 000000003090: 801C1C03
	s_addc_u32 s29, 0, s29                                     // 000000003094: 821D1D80
	buffer_load_dwordx4 a[32:35], v42, s[24:27], 0 offen       // 000000003098: E05C1000 8086202A
	buffer_load_dwordx4 a[36:39], v42, s[24:27], 0 offen offset:1024// 0000000030A0: E05C1400 8086242A
	buffer_load_dwordx4 a[40:43], v43, s[24:27], 0 offen       // 0000000030A8: E05C1000 8086282B
	buffer_load_dwordx4 a[44:47], v43, s[24:27], 0 offen offset:1024// 0000000030B0: E05C1400 80862C2B
	s_add_u32 s24, s58, s24                                    // 0000000030B8: 8018183A
	s_addc_u32 s25, 0, s25                                     // 0000000030BC: 82191980
	buffer_load_dword v24, v22, s[32:35], 0 offen              // 0000000030C0: E0501000 80081816
	buffer_load_dword v38, s[20:23], 0 offen lds               // 0000000030C8: E0511000 80050026
	s_add_u32 m0, 0x100, s49                                   // 0000000030D0: 807C31FF 00000100
	buffer_load_dword v39, s[20:23], 0 offen lds               // 0000000030D8: E0511000 80050027
	s_add_u32 m0, 0x200, s49                                   // 0000000030E0: 807C31FF 00000200
	buffer_load_dword v40, s[20:23], 0 offen lds               // 0000000030E8: E0511000 80050028
	s_add_u32 m0, 0x300, s49                                   // 0000000030F0: 807C31FF 00000300
	buffer_load_dword v41, s[20:23], 0 offen lds               // 0000000030F8: E0511000 80050029
	s_add_u32 m0, 0, s50                                       // 000000003100: 807C3280
	s_add_u32 s20, s57, s20                                    // 000000003104: 80141439
	s_addc_u32 s21, 0, s21                                     // 000000003108: 82151580
	buffer_load_dword v34, v30, s[28:31], 0 offen              // 00000000310C: E0501000 8007221E
	buffer_load_dword v35, v31, s[28:31], 0 offen              // 000000003114: E0501000 8007231F
	s_add_u32 s28, s3, s28                                     // 00000000311C: 801C1C03
	s_addc_u32 s29, 0, s29                                     // 000000003120: 821D1D80
	buffer_load_dwordx4 a[48:51], v42, s[84:87], 0 offen       // 000000003124: E05C1000 8095302A
	buffer_load_dwordx4 a[52:55], v42, s[84:87], 0 offen offset:1024// 00000000312C: E05C1400 8095342A
	buffer_load_dwordx4 a[56:59], v43, s[84:87], 0 offen       // 000000003134: E05C1000 8095382B
	buffer_load_dwordx4 a[60:63], v43, s[84:87], 0 offen offset:1024// 00000000313C: E05C1400 80953C2B
	s_add_u32 s84, s83, s84                                    // 000000003144: 80545453
	s_addc_u32 s85, 0, s85                                     // 000000003148: 82555580
	buffer_load_dword v27, v23, s[32:35], 0 offen              // 00000000314C: E0501000 80081B17
	s_add_u32 s32, s4, s32                                     // 000000003154: 80202004
	s_addc_u32 s33, 0, s33                                     // 000000003158: 82212180
	s_waitcnt vmcnt(18)                                        // 00000000315C: BF8C4F72
	s_barrier                                                  // 000000003160: BF8A0000
	ds_read_b128 a[0:3], v2                                    // 000000003164: DBFE0000 00000002
	ds_read_b128 a[4:7], v2 offset:64                          // 00000000316C: DBFE0040 04000002
	ds_read_b128 a[8:11], v2 offset:512                        // 000000003174: DBFE0200 08000002
	ds_read_b128 a[12:15], v2 offset:576                       // 00000000317C: DBFE0240 0C000002
	s_cmp_lt_i32 s7, 2                                         // 000000003184: BF048207
	s_cbranch_scc0 label_0BEE                                  // 000000003188: BF840A08

000000000000318c <label_01E3>:
	s_waitcnt vmcnt(11) lgkmcnt(0)                             // 00000000318C: BF8C007B
	v_mul_f32_dpp v4, v24, v32 row_newbcast:0 row_mask:0xf bank_mask:0xf// 000000003190: 0A0840FA FF015018
	v_mfma_f32_16x16x32_fp8_fp8 v[8:11], a[32:33], a[0:1], 0   // 000000003198: D3F30008 1A020120
	buffer_load_dword v25, v22, s[32:35], 0 offen              // 0000000031A0: E0501000 80081916
	v_mfma_f32_16x16x32_fp8_fp8 v[8:11], a[34:35], a[2:3], v[8:11]// 0000000031A8: D3F30008 1C220522
	buffer_load_dwordx4 a[64:67], v42, s[24:27], 0 offen       // 0000000031B0: E05C1000 8086402A
	v_mfma_f32_16x16x32_fp8_fp8 v[8:11], a[36:37], a[4:5], v[8:11]// 0000000031B8: D3F30008 1C220924
	v_mfma_f32_16x16x32_fp8_fp8 v[8:11], a[38:39], a[6:7], v[8:11]// 0000000031C0: D3F30008 1C220D26
	v_mfma_f32_16x16x32_fp8_fp8 v[12:15], a[40:41], a[0:1], 0  // 0000000031C8: D3F3000C 1A020128
	v_mfma_f32_16x16x32_fp8_fp8 v[12:15], a[42:43], a[2:3], v[12:15]// 0000000031D0: D3F3000C 1C32052A
	buffer_load_dwordx4 a[68:71], v42, s[24:27], 0 offen offset:1024// 0000000031D8: E05C1400 8086442A
	v_mfma_f32_16x16x32_fp8_fp8 v[12:15], a[44:45], a[4:5], v[12:15]// 0000000031E0: D3F3000C 1C32092C
	v_mfma_f32_16x16x32_fp8_fp8 v[12:15], a[46:47], a[6:7], v[12:15]// 0000000031E8: D3F3000C 1C320D2E
	v_fma_f32 v44, v8, v4, v44                                 // 0000000031F0: D1CB002C 04B20908
	v_fma_f32 v45, v9, v4, v45                                 // 0000000031F8: D1CB002D 04B60909
	v_fma_f32 v46, v10, v4, v46                                // 000000003200: D1CB002E 04BA090A
	v_fma_f32 v47, v11, v4, v47                                // 000000003208: D1CB002F 04BE090B
	v_mul_f32_dpp v6, v24, v33 row_newbcast:0 row_mask:0xf bank_mask:0xf// 000000003210: 0A0C42FA FF015018
	v_mfma_f32_16x16x32_fp8_fp8 v[8:11], a[32:33], a[8:9], 0   // 000000003218: D3F30008 1A021120
	v_mfma_f32_16x16x32_fp8_fp8 v[8:11], a[34:35], a[10:11], v[8:11]// 000000003220: D3F30008 1C221522
	buffer_load_dwordx4 a[72:75], v43, s[24:27], 0 offen       // 000000003228: E05C1000 8086482B
	v_mfma_f32_16x16x32_fp8_fp8 v[8:11], a[36:37], a[12:13], v[8:11]// 000000003230: D3F30008 1C221924
	v_mfma_f32_16x16x32_fp8_fp8 v[8:11], a[38:39], a[14:15], v[8:11]// 000000003238: D3F30008 1C221D26
	v_fma_f32 v52, v12, v4, v52                                // 000000003240: D1CB0034 04D2090C
	v_fma_f32 v53, v13, v4, v53                                // 000000003248: D1CB0035 04D6090D
	v_fma_f32 v54, v14, v4, v54                                // 000000003250: D1CB0036 04DA090E
	v_fma_f32 v55, v15, v4, v55                                // 000000003258: D1CB0037 04DE090F
	v_mfma_f32_16x16x32_fp8_fp8 v[12:15], a[40:41], a[8:9], 0  // 000000003260: D3F3000C 1A021128
	v_mfma_f32_16x16x32_fp8_fp8 v[12:15], a[42:43], a[10:11], v[12:15]// 000000003268: D3F3000C 1C32152A
	buffer_load_dwordx4 a[76:79], v43, s[24:27], 0 offen offset:1024// 000000003270: E05C1400 80864C2B
	buffer_load_dword v38, s[20:23], 0 offen lds               // 000000003278: E0511000 80050026
	s_add_u32 m0, 0x100, s50                                   // 000000003280: 807C32FF 00000100
	v_mfma_f32_16x16x32_fp8_fp8 v[12:15], a[44:45], a[12:13], v[12:15]// 000000003288: D3F3000C 1C32192C
	v_mfma_f32_16x16x32_fp8_fp8 v[12:15], a[46:47], a[14:15], v[12:15]// 000000003290: D3F3000C 1C321D2E
	buffer_load_dword v39, s[20:23], 0 offen lds               // 000000003298: E0511000 80050027
	s_add_u32 m0, 0x200, s50                                   // 0000000032A0: 807C32FF 00000200
	v_fma_f32 v48, v8, v6, v48                                 // 0000000032A8: D1CB0030 04C20D08
	v_fma_f32 v49, v9, v6, v49                                 // 0000000032B0: D1CB0031 04C60D09
	v_fma_f32 v50, v10, v6, v50                                // 0000000032B8: D1CB0032 04CA0D0A
	v_fma_f32 v51, v11, v6, v51                                // 0000000032C0: D1CB0033 04CE0D0B
	v_fma_f32 v56, v12, v6, v56                                // 0000000032C8: D1CB0038 04E20D0C
	v_fma_f32 v57, v13, v6, v57                                // 0000000032D0: D1CB0039 04E60D0D
	v_fma_f32 v58, v14, v6, v58                                // 0000000032D8: D1CB003A 04EA0D0E
	v_fma_f32 v59, v15, v6, v59                                // 0000000032E0: D1CB003B 04EE0D0F
	buffer_load_dword v40, s[20:23], 0 offen lds               // 0000000032E8: E0511000 80050028
	s_add_u32 m0, 0x300, s50                                   // 0000000032F0: 807C32FF 00000300
	buffer_load_dword v41, s[20:23], 0 offen lds               // 0000000032F8: E0511000 80050029
	s_add_u32 m0, 0, s48                                       // 000000003300: 807C3080
	buffer_load_dword v36, v30, s[28:31], 0 offen              // 000000003304: E0501000 8007241E
	buffer_load_dword v37, v31, s[28:31], 0 offen              // 00000000330C: E0501000 8007251F
	s_waitcnt vmcnt(11)                                        // 000000003314: BF8C0F7B
	s_barrier                                                  // 000000003318: BF8A0000
	v_mul_f32_dpp v4, v27, v32 row_newbcast:0 row_mask:0xf bank_mask:0xf// 00000000331C: 0A0840FA FF01501B
	v_mfma_f32_16x16x32_fp8_fp8 v[8:11], a[48:49], a[0:1], 0   // 000000003324: D3F30008 1A020130
	buffer_load_dword v28, v23, s[32:35], 0 offen              // 00000000332C: E0501000 80081C17
	v_mfma_f32_16x16x32_fp8_fp8 v[8:11], a[50:51], a[2:3], v[8:11]// 000000003334: D3F30008 1C220532
	buffer_load_dwordx4 a[32:35], v42, s[84:87], 0 offen       // 00000000333C: E05C1000 8095202A
	v_mfma_f32_16x16x32_fp8_fp8 v[8:11], a[52:53], a[4:5], v[8:11]// 000000003344: D3F30008 1C220934
	v_mfma_f32_16x16x32_fp8_fp8 v[8:11], a[54:55], a[6:7], v[8:11]// 00000000334C: D3F30008 1C220D36
	ds_read_b128 a[16:19], v2 offset:4224                      // 000000003354: DBFE1080 10000002
	ds_read_b128 a[20:23], v2 offset:4288                      // 00000000335C: DBFE10C0 14000002
	v_mfma_f32_16x16x32_fp8_fp8 v[12:15], a[56:57], a[0:1], 0  // 000000003364: D3F3000C 1A020138
	v_mfma_f32_16x16x32_fp8_fp8 v[12:15], a[58:59], a[2:3], v[12:15]// 00000000336C: D3F3000C 1C32053A
	buffer_load_dwordx4 a[36:39], v42, s[84:87], 0 offen offset:1024// 000000003374: E05C1400 8095242A
	v_mfma_f32_16x16x32_fp8_fp8 v[12:15], a[60:61], a[4:5], v[12:15]// 00000000337C: D3F3000C 1C32093C
	v_mfma_f32_16x16x32_fp8_fp8 v[12:15], a[62:63], a[6:7], v[12:15]// 000000003384: D3F3000C 1C320D3E
	ds_read_b128 a[24:27], v2 offset:4736                      // 00000000338C: DBFE1280 18000002
	ds_read_b128 a[28:31], v2 offset:4800                      // 000000003394: DBFE12C0 1C000002
	v_fma_f32 v60, v8, v4, v60                                 // 00000000339C: D1CB003C 04F20908
	v_fma_f32 v61, v9, v4, v61                                 // 0000000033A4: D1CB003D 04F60909
	v_fma_f32 v62, v10, v4, v62                                // 0000000033AC: D1CB003E 04FA090A
	v_fma_f32 v63, v11, v4, v63                                // 0000000033B4: D1CB003F 04FE090B
	v_mul_f32_dpp v6, v27, v33 row_newbcast:0 row_mask:0xf bank_mask:0xf// 0000000033BC: 0A0C42FA FF01501B
	v_mfma_f32_16x16x32_fp8_fp8 v[8:11], a[48:49], a[8:9], 0   // 0000000033C4: D3F30008 1A021130
	s_add_u32 s60, 0x180, s80                                  // 0000000033CC: 803C50FF 00000180
	s_cmp_lt_u32 s60, s81                                      // 0000000033D4: BF0A513C
	s_cselect_b32 s57, s57, 0                                  // 0000000033D8: 85398039
	s_cselect_b32 s3, s3, 0                                    // 0000000033DC: 85038003
	v_mfma_f32_16x16x32_fp8_fp8 v[8:11], a[50:51], a[10:11], v[8:11]// 0000000033E0: D3F30008 1C221532
	buffer_load_dwordx4 a[40:43], v43, s[84:87], 0 offen       // 0000000033E8: E05C1000 8095282B
	s_add_u32 s60, 0x100, s80                                  // 0000000033F0: 803C50FF 00000100
	s_cmp_lt_u32 s60, s81                                      // 0000000033F8: BF0A513C
	s_cselect_b32 s58, s58, 0                                  // 0000000033FC: 853A803A
	v_mfma_f32_16x16x32_fp8_fp8 v[8:11], a[52:53], a[12:13], v[8:11]// 000000003400: D3F30008 1C221934
	s_add_u32 s60, 0x100, s80                                  // 000000003408: 803C50FF 00000100
	s_cmp_lt_u32 s60, s81                                      // 000000003410: BF0A513C
	s_cselect_b32 s83, s83, 0                                  // 000000003414: 85538053
	s_cselect_b32 s4, s4, 0                                    // 000000003418: 85048004
	v_mfma_f32_16x16x32_fp8_fp8 v[8:11], a[54:55], a[14:15], v[8:11]// 00000000341C: D3F30008 1C221D36
	s_add_u32 s24, s58, s24                                    // 000000003424: 8018183A
	s_addc_u32 s25, 0, s25                                     // 000000003428: 82191980
	v_fma_f32 v68, v12, v4, v68                                // 00000000342C: D1CB0044 0512090C
	v_fma_f32 v69, v13, v4, v69                                // 000000003434: D1CB0045 0516090D
	v_fma_f32 v70, v14, v4, v70                                // 00000000343C: D1CB0046 051A090E
	v_fma_f32 v71, v15, v4, v71                                // 000000003444: D1CB0047 051E090F
	v_mfma_f32_16x16x32_fp8_fp8 v[12:15], a[56:57], a[8:9], 0  // 00000000344C: D3F3000C 1A021138
	s_add_u32 s20, s57, s20                                    // 000000003454: 80141439
	s_addc_u32 s21, 0, s21                                     // 000000003458: 82151580
	s_add_u32 s28, s3, s28                                     // 00000000345C: 801C1C03
	s_addc_u32 s29, 0, s29                                     // 000000003460: 821D1D80
	v_mfma_f32_16x16x32_fp8_fp8 v[12:15], a[58:59], a[10:11], v[12:15]// 000000003464: D3F3000C 1C32153A
	buffer_load_dwordx4 a[44:47], v43, s[84:87], 0 offen offset:1024// 00000000346C: E05C1400 80952C2B
	s_add_u32 s84, s83, s84                                    // 000000003474: 80545453
	s_addc_u32 s85, 0, s85                                     // 000000003478: 82555580
	v_mfma_f32_16x16x32_fp8_fp8 v[12:15], a[60:61], a[12:13], v[12:15]// 00000000347C: D3F3000C 1C32193C
	s_add_u32 s32, s4, s32                                     // 000000003484: 80202004
	s_addc_u32 s33, 0, s33                                     // 000000003488: 82212180
	v_mfma_f32_16x16x32_fp8_fp8 v[12:15], a[62:63], a[14:15], v[12:15]// 00000000348C: D3F3000C 1C321D3E
	v_fma_f32 v64, v8, v6, v64                                 // 000000003494: D1CB0040 05020D08
	v_fma_f32 v65, v9, v6, v65                                 // 00000000349C: D1CB0041 05060D09
	v_fma_f32 v66, v10, v6, v66                                // 0000000034A4: D1CB0042 050A0D0A
	v_fma_f32 v67, v11, v6, v67                                // 0000000034AC: D1CB0043 050E0D0B
	v_fma_f32 v72, v12, v6, v72                                // 0000000034B4: D1CB0048 05220D0C
	v_fma_f32 v73, v13, v6, v73                                // 0000000034BC: D1CB0049 05260D0D
	v_fma_f32 v74, v14, v6, v74                                // 0000000034C4: D1CB004A 052A0D0E
	v_fma_f32 v75, v15, v6, v75                                // 0000000034CC: D1CB004B 052E0D0F
	s_addk_i32 s80, 0x80                                       // 0000000034D4: B7500080
	s_cmp_lt_i32 s80, s81                                      // 0000000034D8: BF045150
	s_cbranch_scc0 label_06E2                                  // 0000000034DC: BF84042A
	s_waitcnt vmcnt(11) lgkmcnt(0)                             // 0000000034E0: BF8C007B
	v_mul_f32_dpp v4, v25, v34 row_newbcast:0 row_mask:0xf bank_mask:0xf// 0000000034E4: 0A0844FA FF015019
	v_mfma_f32_16x16x32_fp8_fp8 v[8:11], a[64:65], a[16:17], 0 // 0000000034EC: D3F30008 1A022140
	buffer_load_dword v26, v22, s[32:35], 0 offen              // 0000000034F4: E0501000 80081A16
	v_mfma_f32_16x16x32_fp8_fp8 v[8:11], a[66:67], a[18:19], v[8:11]// 0000000034FC: D3F30008 1C222542
	buffer_load_dwordx4 a[48:51], v42, s[24:27], 0 offen       // 000000003504: E05C1000 8086302A
	v_mfma_f32_16x16x32_fp8_fp8 v[8:11], a[68:69], a[20:21], v[8:11]// 00000000350C: D3F30008 1C222944
	v_mfma_f32_16x16x32_fp8_fp8 v[8:11], a[70:71], a[22:23], v[8:11]// 000000003514: D3F30008 1C222D46
	v_mfma_f32_16x16x32_fp8_fp8 v[12:15], a[72:73], a[16:17], 0// 00000000351C: D3F3000C 1A022148
	v_mfma_f32_16x16x32_fp8_fp8 v[12:15], a[74:75], a[18:19], v[12:15]// 000000003524: D3F3000C 1C32254A
	buffer_load_dwordx4 a[52:55], v42, s[24:27], 0 offen offset:1024// 00000000352C: E05C1400 8086342A
	v_mfma_f32_16x16x32_fp8_fp8 v[12:15], a[76:77], a[20:21], v[12:15]// 000000003534: D3F3000C 1C32294C
	v_mfma_f32_16x16x32_fp8_fp8 v[12:15], a[78:79], a[22:23], v[12:15]// 00000000353C: D3F3000C 1C322D4E
	v_fma_f32 v44, v8, v4, v44                                 // 000000003544: D1CB002C 04B20908
	v_fma_f32 v45, v9, v4, v45                                 // 00000000354C: D1CB002D 04B60909
	v_fma_f32 v46, v10, v4, v46                                // 000000003554: D1CB002E 04BA090A
	v_fma_f32 v47, v11, v4, v47                                // 00000000355C: D1CB002F 04BE090B
	v_mul_f32_dpp v6, v25, v35 row_newbcast:0 row_mask:0xf bank_mask:0xf// 000000003564: 0A0C46FA FF015019
	v_mfma_f32_16x16x32_fp8_fp8 v[8:11], a[64:65], a[24:25], 0 // 00000000356C: D3F30008 1A023140
	v_mfma_f32_16x16x32_fp8_fp8 v[8:11], a[66:67], a[26:27], v[8:11]// 000000003574: D3F30008 1C223542
	buffer_load_dwordx4 a[56:59], v43, s[24:27], 0 offen       // 00000000357C: E05C1000 8086382B
	v_mfma_f32_16x16x32_fp8_fp8 v[8:11], a[68:69], a[28:29], v[8:11]// 000000003584: D3F30008 1C223944
	v_mfma_f32_16x16x32_fp8_fp8 v[8:11], a[70:71], a[30:31], v[8:11]// 00000000358C: D3F30008 1C223D46
	v_fma_f32 v52, v12, v4, v52                                // 000000003594: D1CB0034 04D2090C
	v_fma_f32 v53, v13, v4, v53                                // 00000000359C: D1CB0035 04D6090D
	v_fma_f32 v54, v14, v4, v54                                // 0000000035A4: D1CB0036 04DA090E
	v_fma_f32 v55, v15, v4, v55                                // 0000000035AC: D1CB0037 04DE090F
	v_mfma_f32_16x16x32_fp8_fp8 v[12:15], a[72:73], a[24:25], 0// 0000000035B4: D3F3000C 1A023148
	v_mfma_f32_16x16x32_fp8_fp8 v[12:15], a[74:75], a[26:27], v[12:15]// 0000000035BC: D3F3000C 1C32354A
	buffer_load_dwordx4 a[60:63], v43, s[24:27], 0 offen offset:1024// 0000000035C4: E05C1400 80863C2B
	buffer_load_dword v38, s[20:23], 0 offen lds               // 0000000035CC: E0511000 80050026
	s_add_u32 m0, 0x100, s48                                   // 0000000035D4: 807C30FF 00000100
	v_mfma_f32_16x16x32_fp8_fp8 v[12:15], a[76:77], a[28:29], v[12:15]// 0000000035DC: D3F3000C 1C32394C
	v_mfma_f32_16x16x32_fp8_fp8 v[12:15], a[78:79], a[30:31], v[12:15]// 0000000035E4: D3F3000C 1C323D4E
	buffer_load_dword v39, s[20:23], 0 offen lds               // 0000000035EC: E0511000 80050027
	s_add_u32 m0, 0x200, s48                                   // 0000000035F4: 807C30FF 00000200
	v_fma_f32 v48, v8, v6, v48                                 // 0000000035FC: D1CB0030 04C20D08
	v_fma_f32 v49, v9, v6, v49                                 // 000000003604: D1CB0031 04C60D09
	v_fma_f32 v50, v10, v6, v50                                // 00000000360C: D1CB0032 04CA0D0A
	v_fma_f32 v51, v11, v6, v51                                // 000000003614: D1CB0033 04CE0D0B
	v_fma_f32 v56, v12, v6, v56                                // 00000000361C: D1CB0038 04E20D0C
	v_fma_f32 v57, v13, v6, v57                                // 000000003624: D1CB0039 04E60D0D
	v_fma_f32 v58, v14, v6, v58                                // 00000000362C: D1CB003A 04EA0D0E
	v_fma_f32 v59, v15, v6, v59                                // 000000003634: D1CB003B 04EE0D0F
	buffer_load_dword v40, s[20:23], 0 offen lds               // 00000000363C: E0511000 80050028
	s_add_u32 m0, 0x300, s48                                   // 000000003644: 807C30FF 00000300
	buffer_load_dword v41, s[20:23], 0 offen lds               // 00000000364C: E0511000 80050029
	s_add_u32 m0, 0, s49                                       // 000000003654: 807C3180
	buffer_load_dword v32, v30, s[28:31], 0 offen              // 000000003658: E0501000 8007201E
	buffer_load_dword v33, v31, s[28:31], 0 offen              // 000000003660: E0501000 8007211F
	s_waitcnt vmcnt(11)                                        // 000000003668: BF8C0F7B
	s_barrier                                                  // 00000000366C: BF8A0000
	v_mul_f32_dpp v4, v28, v34 row_newbcast:0 row_mask:0xf bank_mask:0xf// 000000003670: 0A0844FA FF01501C
	v_mfma_f32_16x16x32_fp8_fp8 v[8:11], a[32:33], a[16:17], 0 // 000000003678: D3F30008 1A022120
	buffer_load_dword v29, v23, s[32:35], 0 offen              // 000000003680: E0501000 80081D17
	v_mfma_f32_16x16x32_fp8_fp8 v[8:11], a[34:35], a[18:19], v[8:11]// 000000003688: D3F30008 1C222522
	buffer_load_dwordx4 a[64:67], v42, s[84:87], 0 offen       // 000000003690: E05C1000 8095402A
	v_mfma_f32_16x16x32_fp8_fp8 v[8:11], a[36:37], a[20:21], v[8:11]// 000000003698: D3F30008 1C222924
	v_mfma_f32_16x16x32_fp8_fp8 v[8:11], a[38:39], a[22:23], v[8:11]// 0000000036A0: D3F30008 1C222D26
	ds_read_b128 a[0:3], v2 offset:8448                        // 0000000036A8: DBFE2100 00000002
	ds_read_b128 a[4:7], v2 offset:8512                        // 0000000036B0: DBFE2140 04000002
	v_mfma_f32_16x16x32_fp8_fp8 v[12:15], a[40:41], a[16:17], 0// 0000000036B8: D3F3000C 1A022128
	v_mfma_f32_16x16x32_fp8_fp8 v[12:15], a[42:43], a[18:19], v[12:15]// 0000000036C0: D3F3000C 1C32252A
	buffer_load_dwordx4 a[68:71], v42, s[84:87], 0 offen offset:1024// 0000000036C8: E05C1400 8095442A
	v_mfma_f32_16x16x32_fp8_fp8 v[12:15], a[44:45], a[20:21], v[12:15]// 0000000036D0: D3F3000C 1C32292C
	v_mfma_f32_16x16x32_fp8_fp8 v[12:15], a[46:47], a[22:23], v[12:15]// 0000000036D8: D3F3000C 1C322D2E
	ds_read_b128 a[8:11], v2 offset:8960                       // 0000000036E0: DBFE2300 08000002
	ds_read_b128 a[12:15], v2 offset:9024                      // 0000000036E8: DBFE2340 0C000002
	v_fma_f32 v60, v8, v4, v60                                 // 0000000036F0: D1CB003C 04F20908
	v_fma_f32 v61, v9, v4, v61                                 // 0000000036F8: D1CB003D 04F60909
	v_fma_f32 v62, v10, v4, v62                                // 000000003700: D1CB003E 04FA090A
	v_fma_f32 v63, v11, v4, v63                                // 000000003708: D1CB003F 04FE090B
	v_mul_f32_dpp v6, v28, v35 row_newbcast:0 row_mask:0xf bank_mask:0xf// 000000003710: 0A0C46FA FF01501C
	v_mfma_f32_16x16x32_fp8_fp8 v[8:11], a[32:33], a[24:25], 0 // 000000003718: D3F30008 1A023120
	s_add_u32 s60, 0x180, s80                                  // 000000003720: 803C50FF 00000180
	s_cmp_lt_u32 s60, s81                                      // 000000003728: BF0A513C
	s_cselect_b32 s57, s57, 0                                  // 00000000372C: 85398039
	s_cselect_b32 s3, s3, 0                                    // 000000003730: 85038003
	v_mfma_f32_16x16x32_fp8_fp8 v[8:11], a[34:35], a[26:27], v[8:11]// 000000003734: D3F30008 1C223522
	buffer_load_dwordx4 a[72:75], v43, s[84:87], 0 offen       // 00000000373C: E05C1000 8095482B
	s_add_u32 s60, 0x100, s80                                  // 000000003744: 803C50FF 00000100
	s_cmp_lt_u32 s60, s81                                      // 00000000374C: BF0A513C
	s_cselect_b32 s58, s58, 0                                  // 000000003750: 853A803A
	v_mfma_f32_16x16x32_fp8_fp8 v[8:11], a[36:37], a[28:29], v[8:11]// 000000003754: D3F30008 1C223924
	s_add_u32 s60, 0x100, s80                                  // 00000000375C: 803C50FF 00000100
	s_cmp_lt_u32 s60, s81                                      // 000000003764: BF0A513C
	s_cselect_b32 s83, s83, 0                                  // 000000003768: 85538053
	s_cselect_b32 s4, s4, 0                                    // 00000000376C: 85048004
	v_mfma_f32_16x16x32_fp8_fp8 v[8:11], a[38:39], a[30:31], v[8:11]// 000000003770: D3F30008 1C223D26
	s_add_u32 s24, s58, s24                                    // 000000003778: 8018183A
	s_addc_u32 s25, 0, s25                                     // 00000000377C: 82191980
	v_fma_f32 v68, v12, v4, v68                                // 000000003780: D1CB0044 0512090C
	v_fma_f32 v69, v13, v4, v69                                // 000000003788: D1CB0045 0516090D
	v_fma_f32 v70, v14, v4, v70                                // 000000003790: D1CB0046 051A090E
	v_fma_f32 v71, v15, v4, v71                                // 000000003798: D1CB0047 051E090F
	v_mfma_f32_16x16x32_fp8_fp8 v[12:15], a[40:41], a[24:25], 0// 0000000037A0: D3F3000C 1A023128
	s_add_u32 s20, s57, s20                                    // 0000000037A8: 80141439
	s_addc_u32 s21, 0, s21                                     // 0000000037AC: 82151580
	s_add_u32 s28, s3, s28                                     // 0000000037B0: 801C1C03
	s_addc_u32 s29, 0, s29                                     // 0000000037B4: 821D1D80
	v_mfma_f32_16x16x32_fp8_fp8 v[12:15], a[42:43], a[26:27], v[12:15]// 0000000037B8: D3F3000C 1C32352A
	buffer_load_dwordx4 a[76:79], v43, s[84:87], 0 offen offset:1024// 0000000037C0: E05C1400 80954C2B
	s_add_u32 s84, s83, s84                                    // 0000000037C8: 80545453
	s_addc_u32 s85, 0, s85                                     // 0000000037CC: 82555580
	v_mfma_f32_16x16x32_fp8_fp8 v[12:15], a[44:45], a[28:29], v[12:15]// 0000000037D0: D3F3000C 1C32392C
	s_add_u32 s32, s4, s32                                     // 0000000037D8: 80202004
	s_addc_u32 s33, 0, s33                                     // 0000000037DC: 82212180
	v_mfma_f32_16x16x32_fp8_fp8 v[12:15], a[46:47], a[30:31], v[12:15]// 0000000037E0: D3F3000C 1C323D2E
	v_fma_f32 v64, v8, v6, v64                                 // 0000000037E8: D1CB0040 05020D08
	v_fma_f32 v65, v9, v6, v65                                 // 0000000037F0: D1CB0041 05060D09
	v_fma_f32 v66, v10, v6, v66                                // 0000000037F8: D1CB0042 050A0D0A
	v_fma_f32 v67, v11, v6, v67                                // 000000003800: D1CB0043 050E0D0B
	v_fma_f32 v72, v12, v6, v72                                // 000000003808: D1CB0048 05220D0C
	v_fma_f32 v73, v13, v6, v73                                // 000000003810: D1CB0049 05260D0D
	v_fma_f32 v74, v14, v6, v74                                // 000000003818: D1CB004A 052A0D0E
	v_fma_f32 v75, v15, v6, v75                                // 000000003820: D1CB004B 052E0D0F
	s_addk_i32 s80, 0x80                                       // 000000003828: B7500080
	s_cmp_lt_i32 s80, s81                                      // 00000000382C: BF045150
	s_cbranch_scc0 label_06E2                                  // 000000003830: BF840355
	s_waitcnt vmcnt(11) lgkmcnt(0)                             // 000000003834: BF8C007B
	v_mul_f32_dpp v4, v26, v36 row_newbcast:0 row_mask:0xf bank_mask:0xf// 000000003838: 0A0848FA FF01501A
	v_mfma_f32_16x16x32_fp8_fp8 v[8:11], a[48:49], a[0:1], 0   // 000000003840: D3F30008 1A020130
	buffer_load_dword v24, v22, s[32:35], 0 offen              // 000000003848: E0501000 80081816
	v_mfma_f32_16x16x32_fp8_fp8 v[8:11], a[50:51], a[2:3], v[8:11]// 000000003850: D3F30008 1C220532
	buffer_load_dwordx4 a[32:35], v42, s[24:27], 0 offen       // 000000003858: E05C1000 8086202A
	v_mfma_f32_16x16x32_fp8_fp8 v[8:11], a[52:53], a[4:5], v[8:11]// 000000003860: D3F30008 1C220934
	v_mfma_f32_16x16x32_fp8_fp8 v[8:11], a[54:55], a[6:7], v[8:11]// 000000003868: D3F30008 1C220D36
	v_mfma_f32_16x16x32_fp8_fp8 v[12:15], a[56:57], a[0:1], 0  // 000000003870: D3F3000C 1A020138
	v_mfma_f32_16x16x32_fp8_fp8 v[12:15], a[58:59], a[2:3], v[12:15]// 000000003878: D3F3000C 1C32053A
	buffer_load_dwordx4 a[36:39], v42, s[24:27], 0 offen offset:1024// 000000003880: E05C1400 8086242A
	v_mfma_f32_16x16x32_fp8_fp8 v[12:15], a[60:61], a[4:5], v[12:15]// 000000003888: D3F3000C 1C32093C
	v_mfma_f32_16x16x32_fp8_fp8 v[12:15], a[62:63], a[6:7], v[12:15]// 000000003890: D3F3000C 1C320D3E
	v_fma_f32 v44, v8, v4, v44                                 // 000000003898: D1CB002C 04B20908
	v_fma_f32 v45, v9, v4, v45                                 // 0000000038A0: D1CB002D 04B60909
	v_fma_f32 v46, v10, v4, v46                                // 0000000038A8: D1CB002E 04BA090A
	v_fma_f32 v47, v11, v4, v47                                // 0000000038B0: D1CB002F 04BE090B
	v_mul_f32_dpp v6, v26, v37 row_newbcast:0 row_mask:0xf bank_mask:0xf// 0000000038B8: 0A0C4AFA FF01501A
	v_mfma_f32_16x16x32_fp8_fp8 v[8:11], a[48:49], a[8:9], 0   // 0000000038C0: D3F30008 1A021130
	v_mfma_f32_16x16x32_fp8_fp8 v[8:11], a[50:51], a[10:11], v[8:11]// 0000000038C8: D3F30008 1C221532
	buffer_load_dwordx4 a[40:43], v43, s[24:27], 0 offen       // 0000000038D0: E05C1000 8086282B
	v_mfma_f32_16x16x32_fp8_fp8 v[8:11], a[52:53], a[12:13], v[8:11]// 0000000038D8: D3F30008 1C221934
	v_mfma_f32_16x16x32_fp8_fp8 v[8:11], a[54:55], a[14:15], v[8:11]// 0000000038E0: D3F30008 1C221D36
	v_fma_f32 v52, v12, v4, v52                                // 0000000038E8: D1CB0034 04D2090C
	v_fma_f32 v53, v13, v4, v53                                // 0000000038F0: D1CB0035 04D6090D
	v_fma_f32 v54, v14, v4, v54                                // 0000000038F8: D1CB0036 04DA090E
	v_fma_f32 v55, v15, v4, v55                                // 000000003900: D1CB0037 04DE090F
	v_mfma_f32_16x16x32_fp8_fp8 v[12:15], a[56:57], a[8:9], 0  // 000000003908: D3F3000C 1A021138
	v_mfma_f32_16x16x32_fp8_fp8 v[12:15], a[58:59], a[10:11], v[12:15]// 000000003910: D3F3000C 1C32153A
	buffer_load_dwordx4 a[44:47], v43, s[24:27], 0 offen offset:1024// 000000003918: E05C1400 80862C2B
	buffer_load_dword v38, s[20:23], 0 offen lds               // 000000003920: E0511000 80050026
	s_add_u32 m0, 0x100, s49                                   // 000000003928: 807C31FF 00000100
	v_mfma_f32_16x16x32_fp8_fp8 v[12:15], a[60:61], a[12:13], v[12:15]// 000000003930: D3F3000C 1C32193C
	v_mfma_f32_16x16x32_fp8_fp8 v[12:15], a[62:63], a[14:15], v[12:15]// 000000003938: D3F3000C 1C321D3E
	buffer_load_dword v39, s[20:23], 0 offen lds               // 000000003940: E0511000 80050027
	s_add_u32 m0, 0x200, s49                                   // 000000003948: 807C31FF 00000200
	v_fma_f32 v48, v8, v6, v48                                 // 000000003950: D1CB0030 04C20D08
	v_fma_f32 v49, v9, v6, v49                                 // 000000003958: D1CB0031 04C60D09
	v_fma_f32 v50, v10, v6, v50                                // 000000003960: D1CB0032 04CA0D0A
	v_fma_f32 v51, v11, v6, v51                                // 000000003968: D1CB0033 04CE0D0B
	v_fma_f32 v56, v12, v6, v56                                // 000000003970: D1CB0038 04E20D0C
	v_fma_f32 v57, v13, v6, v57                                // 000000003978: D1CB0039 04E60D0D
	v_fma_f32 v58, v14, v6, v58                                // 000000003980: D1CB003A 04EA0D0E
	v_fma_f32 v59, v15, v6, v59                                // 000000003988: D1CB003B 04EE0D0F
	buffer_load_dword v40, s[20:23], 0 offen lds               // 000000003990: E0511000 80050028
	s_add_u32 m0, 0x300, s49                                   // 000000003998: 807C31FF 00000300
	buffer_load_dword v41, s[20:23], 0 offen lds               // 0000000039A0: E0511000 80050029
	s_add_u32 m0, 0, s50                                       // 0000000039A8: 807C3280
	buffer_load_dword v34, v30, s[28:31], 0 offen              // 0000000039AC: E0501000 8007221E
	buffer_load_dword v35, v31, s[28:31], 0 offen              // 0000000039B4: E0501000 8007231F
	s_waitcnt vmcnt(11)                                        // 0000000039BC: BF8C0F7B
	s_barrier                                                  // 0000000039C0: BF8A0000
	v_mul_f32_dpp v4, v29, v36 row_newbcast:0 row_mask:0xf bank_mask:0xf// 0000000039C4: 0A0848FA FF01501D
	v_mfma_f32_16x16x32_fp8_fp8 v[8:11], a[64:65], a[0:1], 0   // 0000000039CC: D3F30008 1A020140
	buffer_load_dword v27, v23, s[32:35], 0 offen              // 0000000039D4: E0501000 80081B17
	v_mfma_f32_16x16x32_fp8_fp8 v[8:11], a[66:67], a[2:3], v[8:11]// 0000000039DC: D3F30008 1C220542
	buffer_load_dwordx4 a[48:51], v42, s[84:87], 0 offen       // 0000000039E4: E05C1000 8095302A
	v_mfma_f32_16x16x32_fp8_fp8 v[8:11], a[68:69], a[4:5], v[8:11]// 0000000039EC: D3F30008 1C220944
	v_mfma_f32_16x16x32_fp8_fp8 v[8:11], a[70:71], a[6:7], v[8:11]// 0000000039F4: D3F30008 1C220D46
	ds_read_b128 a[16:19], v2                                  // 0000000039FC: DBFE0000 10000002
	ds_read_b128 a[20:23], v2 offset:64                        // 000000003A04: DBFE0040 14000002
	v_mfma_f32_16x16x32_fp8_fp8 v[12:15], a[72:73], a[0:1], 0  // 000000003A0C: D3F3000C 1A020148
	v_mfma_f32_16x16x32_fp8_fp8 v[12:15], a[74:75], a[2:3], v[12:15]// 000000003A14: D3F3000C 1C32054A
	buffer_load_dwordx4 a[52:55], v42, s[84:87], 0 offen offset:1024// 000000003A1C: E05C1400 8095342A
	v_mfma_f32_16x16x32_fp8_fp8 v[12:15], a[76:77], a[4:5], v[12:15]// 000000003A24: D3F3000C 1C32094C
	v_mfma_f32_16x16x32_fp8_fp8 v[12:15], a[78:79], a[6:7], v[12:15]// 000000003A2C: D3F3000C 1C320D4E
	ds_read_b128 a[24:27], v2 offset:512                       // 000000003A34: DBFE0200 18000002
	ds_read_b128 a[28:31], v2 offset:576                       // 000000003A3C: DBFE0240 1C000002
	v_fma_f32 v60, v8, v4, v60                                 // 000000003A44: D1CB003C 04F20908
	v_fma_f32 v61, v9, v4, v61                                 // 000000003A4C: D1CB003D 04F60909
	v_fma_f32 v62, v10, v4, v62                                // 000000003A54: D1CB003E 04FA090A
	v_fma_f32 v63, v11, v4, v63                                // 000000003A5C: D1CB003F 04FE090B
	v_mul_f32_dpp v6, v29, v37 row_newbcast:0 row_mask:0xf bank_mask:0xf// 000000003A64: 0A0C4AFA FF01501D
	v_mfma_f32_16x16x32_fp8_fp8 v[8:11], a[64:65], a[8:9], 0   // 000000003A6C: D3F30008 1A021140
	s_add_u32 s60, 0x180, s80                                  // 000000003A74: 803C50FF 00000180
	s_cmp_lt_u32 s60, s81                                      // 000000003A7C: BF0A513C
	s_cselect_b32 s57, s57, 0                                  // 000000003A80: 85398039
	s_cselect_b32 s3, s3, 0                                    // 000000003A84: 85038003
	v_mfma_f32_16x16x32_fp8_fp8 v[8:11], a[66:67], a[10:11], v[8:11]// 000000003A88: D3F30008 1C221542
	buffer_load_dwordx4 a[56:59], v43, s[84:87], 0 offen       // 000000003A90: E05C1000 8095382B
	s_add_u32 s60, 0x100, s80                                  // 000000003A98: 803C50FF 00000100
	s_cmp_lt_u32 s60, s81                                      // 000000003AA0: BF0A513C
	s_cselect_b32 s58, s58, 0                                  // 000000003AA4: 853A803A
	v_mfma_f32_16x16x32_fp8_fp8 v[8:11], a[68:69], a[12:13], v[8:11]// 000000003AA8: D3F30008 1C221944
	s_add_u32 s60, 0x100, s80                                  // 000000003AB0: 803C50FF 00000100
	s_cmp_lt_u32 s60, s81                                      // 000000003AB8: BF0A513C
	s_cselect_b32 s83, s83, 0                                  // 000000003ABC: 85538053
	s_cselect_b32 s4, s4, 0                                    // 000000003AC0: 85048004
	v_mfma_f32_16x16x32_fp8_fp8 v[8:11], a[70:71], a[14:15], v[8:11]// 000000003AC4: D3F30008 1C221D46
	s_add_u32 s24, s58, s24                                    // 000000003ACC: 8018183A
	s_addc_u32 s25, 0, s25                                     // 000000003AD0: 82191980
	v_fma_f32 v68, v12, v4, v68                                // 000000003AD4: D1CB0044 0512090C
	v_fma_f32 v69, v13, v4, v69                                // 000000003ADC: D1CB0045 0516090D
	v_fma_f32 v70, v14, v4, v70                                // 000000003AE4: D1CB0046 051A090E
	v_fma_f32 v71, v15, v4, v71                                // 000000003AEC: D1CB0047 051E090F
	v_mfma_f32_16x16x32_fp8_fp8 v[12:15], a[72:73], a[8:9], 0  // 000000003AF4: D3F3000C 1A021148
	s_add_u32 s20, s57, s20                                    // 000000003AFC: 80141439
	s_addc_u32 s21, 0, s21                                     // 000000003B00: 82151580
	s_add_u32 s28, s3, s28                                     // 000000003B04: 801C1C03
	s_addc_u32 s29, 0, s29                                     // 000000003B08: 821D1D80
	v_mfma_f32_16x16x32_fp8_fp8 v[12:15], a[74:75], a[10:11], v[12:15]// 000000003B0C: D3F3000C 1C32154A
	buffer_load_dwordx4 a[60:63], v43, s[84:87], 0 offen offset:1024// 000000003B14: E05C1400 80953C2B
	s_add_u32 s84, s83, s84                                    // 000000003B1C: 80545453
	s_addc_u32 s85, 0, s85                                     // 000000003B20: 82555580
	v_mfma_f32_16x16x32_fp8_fp8 v[12:15], a[76:77], a[12:13], v[12:15]// 000000003B24: D3F3000C 1C32194C
	s_add_u32 s32, s4, s32                                     // 000000003B2C: 80202004
	s_addc_u32 s33, 0, s33                                     // 000000003B30: 82212180
	v_mfma_f32_16x16x32_fp8_fp8 v[12:15], a[78:79], a[14:15], v[12:15]// 000000003B34: D3F3000C 1C321D4E
	v_fma_f32 v64, v8, v6, v64                                 // 000000003B3C: D1CB0040 05020D08
	v_fma_f32 v65, v9, v6, v65                                 // 000000003B44: D1CB0041 05060D09
	v_fma_f32 v66, v10, v6, v66                                // 000000003B4C: D1CB0042 050A0D0A
	v_fma_f32 v67, v11, v6, v67                                // 000000003B54: D1CB0043 050E0D0B
	v_fma_f32 v72, v12, v6, v72                                // 000000003B5C: D1CB0048 05220D0C
	v_fma_f32 v73, v13, v6, v73                                // 000000003B64: D1CB0049 05260D0D
	v_fma_f32 v74, v14, v6, v74                                // 000000003B6C: D1CB004A 052A0D0E
	v_fma_f32 v75, v15, v6, v75                                // 000000003B74: D1CB004B 052E0D0F
	s_addk_i32 s80, 0x80                                       // 000000003B7C: B7500080
	s_cmp_lt_i32 s80, s81                                      // 000000003B80: BF045150
	s_cbranch_scc0 label_06E2                                  // 000000003B84: BF840280
	s_waitcnt vmcnt(11) lgkmcnt(0)                             // 000000003B88: BF8C007B
	v_mul_f32_dpp v4, v24, v32 row_newbcast:0 row_mask:0xf bank_mask:0xf// 000000003B8C: 0A0840FA FF015018
	v_mfma_f32_16x16x32_fp8_fp8 v[8:11], a[32:33], a[16:17], 0 // 000000003B94: D3F30008 1A022120
	buffer_load_dword v25, v22, s[32:35], 0 offen              // 000000003B9C: E0501000 80081916
	v_mfma_f32_16x16x32_fp8_fp8 v[8:11], a[34:35], a[18:19], v[8:11]// 000000003BA4: D3F30008 1C222522
	buffer_load_dwordx4 a[64:67], v42, s[24:27], 0 offen       // 000000003BAC: E05C1000 8086402A
	v_mfma_f32_16x16x32_fp8_fp8 v[8:11], a[36:37], a[20:21], v[8:11]// 000000003BB4: D3F30008 1C222924
	v_mfma_f32_16x16x32_fp8_fp8 v[8:11], a[38:39], a[22:23], v[8:11]// 000000003BBC: D3F30008 1C222D26
	v_mfma_f32_16x16x32_fp8_fp8 v[12:15], a[40:41], a[16:17], 0// 000000003BC4: D3F3000C 1A022128
	v_mfma_f32_16x16x32_fp8_fp8 v[12:15], a[42:43], a[18:19], v[12:15]// 000000003BCC: D3F3000C 1C32252A
	buffer_load_dwordx4 a[68:71], v42, s[24:27], 0 offen offset:1024// 000000003BD4: E05C1400 8086442A
	v_mfma_f32_16x16x32_fp8_fp8 v[12:15], a[44:45], a[20:21], v[12:15]// 000000003BDC: D3F3000C 1C32292C
	v_mfma_f32_16x16x32_fp8_fp8 v[12:15], a[46:47], a[22:23], v[12:15]// 000000003BE4: D3F3000C 1C322D2E
	v_fma_f32 v44, v8, v4, v44                                 // 000000003BEC: D1CB002C 04B20908
	v_fma_f32 v45, v9, v4, v45                                 // 000000003BF4: D1CB002D 04B60909
	v_fma_f32 v46, v10, v4, v46                                // 000000003BFC: D1CB002E 04BA090A
	v_fma_f32 v47, v11, v4, v47                                // 000000003C04: D1CB002F 04BE090B
	v_mul_f32_dpp v6, v24, v33 row_newbcast:0 row_mask:0xf bank_mask:0xf// 000000003C0C: 0A0C42FA FF015018
	v_mfma_f32_16x16x32_fp8_fp8 v[8:11], a[32:33], a[24:25], 0 // 000000003C14: D3F30008 1A023120
	v_mfma_f32_16x16x32_fp8_fp8 v[8:11], a[34:35], a[26:27], v[8:11]// 000000003C1C: D3F30008 1C223522
	buffer_load_dwordx4 a[72:75], v43, s[24:27], 0 offen       // 000000003C24: E05C1000 8086482B
	v_mfma_f32_16x16x32_fp8_fp8 v[8:11], a[36:37], a[28:29], v[8:11]// 000000003C2C: D3F30008 1C223924
	v_mfma_f32_16x16x32_fp8_fp8 v[8:11], a[38:39], a[30:31], v[8:11]// 000000003C34: D3F30008 1C223D26
	v_fma_f32 v52, v12, v4, v52                                // 000000003C3C: D1CB0034 04D2090C
	v_fma_f32 v53, v13, v4, v53                                // 000000003C44: D1CB0035 04D6090D
	v_fma_f32 v54, v14, v4, v54                                // 000000003C4C: D1CB0036 04DA090E
	v_fma_f32 v55, v15, v4, v55                                // 000000003C54: D1CB0037 04DE090F
	v_mfma_f32_16x16x32_fp8_fp8 v[12:15], a[40:41], a[24:25], 0// 000000003C5C: D3F3000C 1A023128
	v_mfma_f32_16x16x32_fp8_fp8 v[12:15], a[42:43], a[26:27], v[12:15]// 000000003C64: D3F3000C 1C32352A
	buffer_load_dwordx4 a[76:79], v43, s[24:27], 0 offen offset:1024// 000000003C6C: E05C1400 80864C2B
	buffer_load_dword v38, s[20:23], 0 offen lds               // 000000003C74: E0511000 80050026
	s_add_u32 m0, 0x100, s50                                   // 000000003C7C: 807C32FF 00000100
	v_mfma_f32_16x16x32_fp8_fp8 v[12:15], a[44:45], a[28:29], v[12:15]// 000000003C84: D3F3000C 1C32392C
	v_mfma_f32_16x16x32_fp8_fp8 v[12:15], a[46:47], a[30:31], v[12:15]// 000000003C8C: D3F3000C 1C323D2E
	buffer_load_dword v39, s[20:23], 0 offen lds               // 000000003C94: E0511000 80050027
	s_add_u32 m0, 0x200, s50                                   // 000000003C9C: 807C32FF 00000200
	v_fma_f32 v48, v8, v6, v48                                 // 000000003CA4: D1CB0030 04C20D08
	v_fma_f32 v49, v9, v6, v49                                 // 000000003CAC: D1CB0031 04C60D09
	v_fma_f32 v50, v10, v6, v50                                // 000000003CB4: D1CB0032 04CA0D0A
	v_fma_f32 v51, v11, v6, v51                                // 000000003CBC: D1CB0033 04CE0D0B
	v_fma_f32 v56, v12, v6, v56                                // 000000003CC4: D1CB0038 04E20D0C
	v_fma_f32 v57, v13, v6, v57                                // 000000003CCC: D1CB0039 04E60D0D
	v_fma_f32 v58, v14, v6, v58                                // 000000003CD4: D1CB003A 04EA0D0E
	v_fma_f32 v59, v15, v6, v59                                // 000000003CDC: D1CB003B 04EE0D0F
	buffer_load_dword v40, s[20:23], 0 offen lds               // 000000003CE4: E0511000 80050028
	s_add_u32 m0, 0x300, s50                                   // 000000003CEC: 807C32FF 00000300
	buffer_load_dword v41, s[20:23], 0 offen lds               // 000000003CF4: E0511000 80050029
	s_add_u32 m0, 0, s48                                       // 000000003CFC: 807C3080
	buffer_load_dword v36, v30, s[28:31], 0 offen              // 000000003D00: E0501000 8007241E
	buffer_load_dword v37, v31, s[28:31], 0 offen              // 000000003D08: E0501000 8007251F
	s_waitcnt vmcnt(11)                                        // 000000003D10: BF8C0F7B
	s_barrier                                                  // 000000003D14: BF8A0000
	v_mul_f32_dpp v4, v27, v32 row_newbcast:0 row_mask:0xf bank_mask:0xf// 000000003D18: 0A0840FA FF01501B
	v_mfma_f32_16x16x32_fp8_fp8 v[8:11], a[48:49], a[16:17], 0 // 000000003D20: D3F30008 1A022130
	buffer_load_dword v28, v23, s[32:35], 0 offen              // 000000003D28: E0501000 80081C17
	v_mfma_f32_16x16x32_fp8_fp8 v[8:11], a[50:51], a[18:19], v[8:11]// 000000003D30: D3F30008 1C222532
	buffer_load_dwordx4 a[32:35], v42, s[84:87], 0 offen       // 000000003D38: E05C1000 8095202A
	v_mfma_f32_16x16x32_fp8_fp8 v[8:11], a[52:53], a[20:21], v[8:11]// 000000003D40: D3F30008 1C222934
	v_mfma_f32_16x16x32_fp8_fp8 v[8:11], a[54:55], a[22:23], v[8:11]// 000000003D48: D3F30008 1C222D36
	ds_read_b128 a[0:3], v2 offset:4224                        // 000000003D50: DBFE1080 00000002
	ds_read_b128 a[4:7], v2 offset:4288                        // 000000003D58: DBFE10C0 04000002
	v_mfma_f32_16x16x32_fp8_fp8 v[12:15], a[56:57], a[16:17], 0// 000000003D60: D3F3000C 1A022138
	v_mfma_f32_16x16x32_fp8_fp8 v[12:15], a[58:59], a[18:19], v[12:15]// 000000003D68: D3F3000C 1C32253A
	buffer_load_dwordx4 a[36:39], v42, s[84:87], 0 offen offset:1024// 000000003D70: E05C1400 8095242A
	v_mfma_f32_16x16x32_fp8_fp8 v[12:15], a[60:61], a[20:21], v[12:15]// 000000003D78: D3F3000C 1C32293C
	v_mfma_f32_16x16x32_fp8_fp8 v[12:15], a[62:63], a[22:23], v[12:15]// 000000003D80: D3F3000C 1C322D3E
	ds_read_b128 a[8:11], v2 offset:4736                       // 000000003D88: DBFE1280 08000002
	ds_read_b128 a[12:15], v2 offset:4800                      // 000000003D90: DBFE12C0 0C000002
	v_fma_f32 v60, v8, v4, v60                                 // 000000003D98: D1CB003C 04F20908
	v_fma_f32 v61, v9, v4, v61                                 // 000000003DA0: D1CB003D 04F60909
	v_fma_f32 v62, v10, v4, v62                                // 000000003DA8: D1CB003E 04FA090A
	v_fma_f32 v63, v11, v4, v63                                // 000000003DB0: D1CB003F 04FE090B
	v_mul_f32_dpp v6, v27, v33 row_newbcast:0 row_mask:0xf bank_mask:0xf// 000000003DB8: 0A0C42FA FF01501B
	v_mfma_f32_16x16x32_fp8_fp8 v[8:11], a[48:49], a[24:25], 0 // 000000003DC0: D3F30008 1A023130
	s_add_u32 s60, 0x180, s80                                  // 000000003DC8: 803C50FF 00000180
	s_cmp_lt_u32 s60, s81                                      // 000000003DD0: BF0A513C
	s_cselect_b32 s57, s57, 0                                  // 000000003DD4: 85398039
	s_cselect_b32 s3, s3, 0                                    // 000000003DD8: 85038003
	v_mfma_f32_16x16x32_fp8_fp8 v[8:11], a[50:51], a[26:27], v[8:11]// 000000003DDC: D3F30008 1C223532
	buffer_load_dwordx4 a[40:43], v43, s[84:87], 0 offen       // 000000003DE4: E05C1000 8095282B
	s_add_u32 s60, 0x100, s80                                  // 000000003DEC: 803C50FF 00000100
	s_cmp_lt_u32 s60, s81                                      // 000000003DF4: BF0A513C
	s_cselect_b32 s58, s58, 0                                  // 000000003DF8: 853A803A
	v_mfma_f32_16x16x32_fp8_fp8 v[8:11], a[52:53], a[28:29], v[8:11]// 000000003DFC: D3F30008 1C223934
	s_add_u32 s60, 0x100, s80                                  // 000000003E04: 803C50FF 00000100
	s_cmp_lt_u32 s60, s81                                      // 000000003E0C: BF0A513C
	s_cselect_b32 s83, s83, 0                                  // 000000003E10: 85538053
	s_cselect_b32 s4, s4, 0                                    // 000000003E14: 85048004
	v_mfma_f32_16x16x32_fp8_fp8 v[8:11], a[54:55], a[30:31], v[8:11]// 000000003E18: D3F30008 1C223D36
	s_add_u32 s24, s58, s24                                    // 000000003E20: 8018183A
	s_addc_u32 s25, 0, s25                                     // 000000003E24: 82191980
	v_fma_f32 v68, v12, v4, v68                                // 000000003E28: D1CB0044 0512090C
	v_fma_f32 v69, v13, v4, v69                                // 000000003E30: D1CB0045 0516090D
	v_fma_f32 v70, v14, v4, v70                                // 000000003E38: D1CB0046 051A090E
	v_fma_f32 v71, v15, v4, v71                                // 000000003E40: D1CB0047 051E090F
	v_mfma_f32_16x16x32_fp8_fp8 v[12:15], a[56:57], a[24:25], 0// 000000003E48: D3F3000C 1A023138
	s_add_u32 s20, s57, s20                                    // 000000003E50: 80141439
	s_addc_u32 s21, 0, s21                                     // 000000003E54: 82151580
	s_add_u32 s28, s3, s28                                     // 000000003E58: 801C1C03
	s_addc_u32 s29, 0, s29                                     // 000000003E5C: 821D1D80
	v_mfma_f32_16x16x32_fp8_fp8 v[12:15], a[58:59], a[26:27], v[12:15]// 000000003E60: D3F3000C 1C32353A
	buffer_load_dwordx4 a[44:47], v43, s[84:87], 0 offen offset:1024// 000000003E68: E05C1400 80952C2B
	s_add_u32 s84, s83, s84                                    // 000000003E70: 80545453
	s_addc_u32 s85, 0, s85                                     // 000000003E74: 82555580
	v_mfma_f32_16x16x32_fp8_fp8 v[12:15], a[60:61], a[28:29], v[12:15]// 000000003E78: D3F3000C 1C32393C
	s_add_u32 s32, s4, s32                                     // 000000003E80: 80202004
	s_addc_u32 s33, 0, s33                                     // 000000003E84: 82212180
	v_mfma_f32_16x16x32_fp8_fp8 v[12:15], a[62:63], a[30:31], v[12:15]// 000000003E88: D3F3000C 1C323D3E
	v_fma_f32 v64, v8, v6, v64                                 // 000000003E90: D1CB0040 05020D08
	v_fma_f32 v65, v9, v6, v65                                 // 000000003E98: D1CB0041 05060D09
	v_fma_f32 v66, v10, v6, v66                                // 000000003EA0: D1CB0042 050A0D0A
	v_fma_f32 v67, v11, v6, v67                                // 000000003EA8: D1CB0043 050E0D0B
	v_fma_f32 v72, v12, v6, v72                                // 000000003EB0: D1CB0048 05220D0C
	v_fma_f32 v73, v13, v6, v73                                // 000000003EB8: D1CB0049 05260D0D
	v_fma_f32 v74, v14, v6, v74                                // 000000003EC0: D1CB004A 052A0D0E
	v_fma_f32 v75, v15, v6, v75                                // 000000003EC8: D1CB004B 052E0D0F
	s_addk_i32 s80, 0x80                                       // 000000003ED0: B7500080
	s_cmp_lt_i32 s80, s81                                      // 000000003ED4: BF045150
	s_cbranch_scc0 label_06E2                                  // 000000003ED8: BF8401AB
	s_waitcnt vmcnt(11) lgkmcnt(0)                             // 000000003EDC: BF8C007B
	v_mul_f32_dpp v4, v25, v34 row_newbcast:0 row_mask:0xf bank_mask:0xf// 000000003EE0: 0A0844FA FF015019
	v_mfma_f32_16x16x32_fp8_fp8 v[8:11], a[64:65], a[0:1], 0   // 000000003EE8: D3F30008 1A020140
	buffer_load_dword v26, v22, s[32:35], 0 offen              // 000000003EF0: E0501000 80081A16
	v_mfma_f32_16x16x32_fp8_fp8 v[8:11], a[66:67], a[2:3], v[8:11]// 000000003EF8: D3F30008 1C220542
	buffer_load_dwordx4 a[48:51], v42, s[24:27], 0 offen       // 000000003F00: E05C1000 8086302A
	v_mfma_f32_16x16x32_fp8_fp8 v[8:11], a[68:69], a[4:5], v[8:11]// 000000003F08: D3F30008 1C220944
	v_mfma_f32_16x16x32_fp8_fp8 v[8:11], a[70:71], a[6:7], v[8:11]// 000000003F10: D3F30008 1C220D46
	v_mfma_f32_16x16x32_fp8_fp8 v[12:15], a[72:73], a[0:1], 0  // 000000003F18: D3F3000C 1A020148
	v_mfma_f32_16x16x32_fp8_fp8 v[12:15], a[74:75], a[2:3], v[12:15]// 000000003F20: D3F3000C 1C32054A
	buffer_load_dwordx4 a[52:55], v42, s[24:27], 0 offen offset:1024// 000000003F28: E05C1400 8086342A
	v_mfma_f32_16x16x32_fp8_fp8 v[12:15], a[76:77], a[4:5], v[12:15]// 000000003F30: D3F3000C 1C32094C
	v_mfma_f32_16x16x32_fp8_fp8 v[12:15], a[78:79], a[6:7], v[12:15]// 000000003F38: D3F3000C 1C320D4E
	v_fma_f32 v44, v8, v4, v44                                 // 000000003F40: D1CB002C 04B20908
	v_fma_f32 v45, v9, v4, v45                                 // 000000003F48: D1CB002D 04B60909
	v_fma_f32 v46, v10, v4, v46                                // 000000003F50: D1CB002E 04BA090A
	v_fma_f32 v47, v11, v4, v47                                // 000000003F58: D1CB002F 04BE090B
	v_mul_f32_dpp v6, v25, v35 row_newbcast:0 row_mask:0xf bank_mask:0xf// 000000003F60: 0A0C46FA FF015019
	v_mfma_f32_16x16x32_fp8_fp8 v[8:11], a[64:65], a[8:9], 0   // 000000003F68: D3F30008 1A021140
	v_mfma_f32_16x16x32_fp8_fp8 v[8:11], a[66:67], a[10:11], v[8:11]// 000000003F70: D3F30008 1C221542
	buffer_load_dwordx4 a[56:59], v43, s[24:27], 0 offen       // 000000003F78: E05C1000 8086382B
	v_mfma_f32_16x16x32_fp8_fp8 v[8:11], a[68:69], a[12:13], v[8:11]// 000000003F80: D3F30008 1C221944
	v_mfma_f32_16x16x32_fp8_fp8 v[8:11], a[70:71], a[14:15], v[8:11]// 000000003F88: D3F30008 1C221D46
	v_fma_f32 v52, v12, v4, v52                                // 000000003F90: D1CB0034 04D2090C
	v_fma_f32 v53, v13, v4, v53                                // 000000003F98: D1CB0035 04D6090D
	v_fma_f32 v54, v14, v4, v54                                // 000000003FA0: D1CB0036 04DA090E
	v_fma_f32 v55, v15, v4, v55                                // 000000003FA8: D1CB0037 04DE090F
	v_mfma_f32_16x16x32_fp8_fp8 v[12:15], a[72:73], a[8:9], 0  // 000000003FB0: D3F3000C 1A021148
	v_mfma_f32_16x16x32_fp8_fp8 v[12:15], a[74:75], a[10:11], v[12:15]// 000000003FB8: D3F3000C 1C32154A
	buffer_load_dwordx4 a[60:63], v43, s[24:27], 0 offen offset:1024// 000000003FC0: E05C1400 80863C2B
	buffer_load_dword v38, s[20:23], 0 offen lds               // 000000003FC8: E0511000 80050026
	s_add_u32 m0, 0x100, s48                                   // 000000003FD0: 807C30FF 00000100
	v_mfma_f32_16x16x32_fp8_fp8 v[12:15], a[76:77], a[12:13], v[12:15]// 000000003FD8: D3F3000C 1C32194C
	v_mfma_f32_16x16x32_fp8_fp8 v[12:15], a[78:79], a[14:15], v[12:15]// 000000003FE0: D3F3000C 1C321D4E
	buffer_load_dword v39, s[20:23], 0 offen lds               // 000000003FE8: E0511000 80050027
	s_add_u32 m0, 0x200, s48                                   // 000000003FF0: 807C30FF 00000200
	v_fma_f32 v48, v8, v6, v48                                 // 000000003FF8: D1CB0030 04C20D08
	v_fma_f32 v49, v9, v6, v49                                 // 000000004000: D1CB0031 04C60D09
	v_fma_f32 v50, v10, v6, v50                                // 000000004008: D1CB0032 04CA0D0A
	v_fma_f32 v51, v11, v6, v51                                // 000000004010: D1CB0033 04CE0D0B
	v_fma_f32 v56, v12, v6, v56                                // 000000004018: D1CB0038 04E20D0C
	v_fma_f32 v57, v13, v6, v57                                // 000000004020: D1CB0039 04E60D0D
	v_fma_f32 v58, v14, v6, v58                                // 000000004028: D1CB003A 04EA0D0E
	v_fma_f32 v59, v15, v6, v59                                // 000000004030: D1CB003B 04EE0D0F
	buffer_load_dword v40, s[20:23], 0 offen lds               // 000000004038: E0511000 80050028
	s_add_u32 m0, 0x300, s48                                   // 000000004040: 807C30FF 00000300
	buffer_load_dword v41, s[20:23], 0 offen lds               // 000000004048: E0511000 80050029
	s_add_u32 m0, 0, s49                                       // 000000004050: 807C3180
	buffer_load_dword v32, v30, s[28:31], 0 offen              // 000000004054: E0501000 8007201E
	buffer_load_dword v33, v31, s[28:31], 0 offen              // 00000000405C: E0501000 8007211F
	s_waitcnt vmcnt(11)                                        // 000000004064: BF8C0F7B
	s_barrier                                                  // 000000004068: BF8A0000
	v_mul_f32_dpp v4, v28, v34 row_newbcast:0 row_mask:0xf bank_mask:0xf// 00000000406C: 0A0844FA FF01501C
	v_mfma_f32_16x16x32_fp8_fp8 v[8:11], a[32:33], a[0:1], 0   // 000000004074: D3F30008 1A020120
	buffer_load_dword v29, v23, s[32:35], 0 offen              // 00000000407C: E0501000 80081D17
	v_mfma_f32_16x16x32_fp8_fp8 v[8:11], a[34:35], a[2:3], v[8:11]// 000000004084: D3F30008 1C220522
	buffer_load_dwordx4 a[64:67], v42, s[84:87], 0 offen       // 00000000408C: E05C1000 8095402A
	v_mfma_f32_16x16x32_fp8_fp8 v[8:11], a[36:37], a[4:5], v[8:11]// 000000004094: D3F30008 1C220924
	v_mfma_f32_16x16x32_fp8_fp8 v[8:11], a[38:39], a[6:7], v[8:11]// 00000000409C: D3F30008 1C220D26
	ds_read_b128 a[16:19], v2 offset:8448                      // 0000000040A4: DBFE2100 10000002
	ds_read_b128 a[20:23], v2 offset:8512                      // 0000000040AC: DBFE2140 14000002
	v_mfma_f32_16x16x32_fp8_fp8 v[12:15], a[40:41], a[0:1], 0  // 0000000040B4: D3F3000C 1A020128
	v_mfma_f32_16x16x32_fp8_fp8 v[12:15], a[42:43], a[2:3], v[12:15]// 0000000040BC: D3F3000C 1C32052A
	buffer_load_dwordx4 a[68:71], v42, s[84:87], 0 offen offset:1024// 0000000040C4: E05C1400 8095442A
	v_mfma_f32_16x16x32_fp8_fp8 v[12:15], a[44:45], a[4:5], v[12:15]// 0000000040CC: D3F3000C 1C32092C
	v_mfma_f32_16x16x32_fp8_fp8 v[12:15], a[46:47], a[6:7], v[12:15]// 0000000040D4: D3F3000C 1C320D2E
	ds_read_b128 a[24:27], v2 offset:8960                      // 0000000040DC: DBFE2300 18000002
	ds_read_b128 a[28:31], v2 offset:9024                      // 0000000040E4: DBFE2340 1C000002
	v_fma_f32 v60, v8, v4, v60                                 // 0000000040EC: D1CB003C 04F20908
	v_fma_f32 v61, v9, v4, v61                                 // 0000000040F4: D1CB003D 04F60909
	v_fma_f32 v62, v10, v4, v62                                // 0000000040FC: D1CB003E 04FA090A
	v_fma_f32 v63, v11, v4, v63                                // 000000004104: D1CB003F 04FE090B
	v_mul_f32_dpp v6, v28, v35 row_newbcast:0 row_mask:0xf bank_mask:0xf// 00000000410C: 0A0C46FA FF01501C
	v_mfma_f32_16x16x32_fp8_fp8 v[8:11], a[32:33], a[8:9], 0   // 000000004114: D3F30008 1A021120
	s_add_u32 s60, 0x180, s80                                  // 00000000411C: 803C50FF 00000180
	s_cmp_lt_u32 s60, s81                                      // 000000004124: BF0A513C
	s_cselect_b32 s57, s57, 0                                  // 000000004128: 85398039
	s_cselect_b32 s3, s3, 0                                    // 00000000412C: 85038003
	v_mfma_f32_16x16x32_fp8_fp8 v[8:11], a[34:35], a[10:11], v[8:11]// 000000004130: D3F30008 1C221522
	buffer_load_dwordx4 a[72:75], v43, s[84:87], 0 offen       // 000000004138: E05C1000 8095482B
	s_add_u32 s60, 0x100, s80                                  // 000000004140: 803C50FF 00000100
	s_cmp_lt_u32 s60, s81                                      // 000000004148: BF0A513C
	s_cselect_b32 s58, s58, 0                                  // 00000000414C: 853A803A
	v_mfma_f32_16x16x32_fp8_fp8 v[8:11], a[36:37], a[12:13], v[8:11]// 000000004150: D3F30008 1C221924
	s_add_u32 s60, 0x100, s80                                  // 000000004158: 803C50FF 00000100
	s_cmp_lt_u32 s60, s81                                      // 000000004160: BF0A513C
	s_cselect_b32 s83, s83, 0                                  // 000000004164: 85538053
	s_cselect_b32 s4, s4, 0                                    // 000000004168: 85048004
	v_mfma_f32_16x16x32_fp8_fp8 v[8:11], a[38:39], a[14:15], v[8:11]// 00000000416C: D3F30008 1C221D26
	s_add_u32 s24, s58, s24                                    // 000000004174: 8018183A
	s_addc_u32 s25, 0, s25                                     // 000000004178: 82191980
	v_fma_f32 v68, v12, v4, v68                                // 00000000417C: D1CB0044 0512090C
	v_fma_f32 v69, v13, v4, v69                                // 000000004184: D1CB0045 0516090D
	v_fma_f32 v70, v14, v4, v70                                // 00000000418C: D1CB0046 051A090E
	v_fma_f32 v71, v15, v4, v71                                // 000000004194: D1CB0047 051E090F
	v_mfma_f32_16x16x32_fp8_fp8 v[12:15], a[40:41], a[8:9], 0  // 00000000419C: D3F3000C 1A021128
	s_add_u32 s20, s57, s20                                    // 0000000041A4: 80141439
	s_addc_u32 s21, 0, s21                                     // 0000000041A8: 82151580
	s_add_u32 s28, s3, s28                                     // 0000000041AC: 801C1C03
	s_addc_u32 s29, 0, s29                                     // 0000000041B0: 821D1D80
	v_mfma_f32_16x16x32_fp8_fp8 v[12:15], a[42:43], a[10:11], v[12:15]// 0000000041B4: D3F3000C 1C32152A
	buffer_load_dwordx4 a[76:79], v43, s[84:87], 0 offen offset:1024// 0000000041BC: E05C1400 80954C2B
	s_add_u32 s84, s83, s84                                    // 0000000041C4: 80545453
	s_addc_u32 s85, 0, s85                                     // 0000000041C8: 82555580
	v_mfma_f32_16x16x32_fp8_fp8 v[12:15], a[44:45], a[12:13], v[12:15]// 0000000041CC: D3F3000C 1C32192C
	s_add_u32 s32, s4, s32                                     // 0000000041D4: 80202004
	s_addc_u32 s33, 0, s33                                     // 0000000041D8: 82212180
	v_mfma_f32_16x16x32_fp8_fp8 v[12:15], a[46:47], a[14:15], v[12:15]// 0000000041DC: D3F3000C 1C321D2E
	v_fma_f32 v64, v8, v6, v64                                 // 0000000041E4: D1CB0040 05020D08
	v_fma_f32 v65, v9, v6, v65                                 // 0000000041EC: D1CB0041 05060D09
	v_fma_f32 v66, v10, v6, v66                                // 0000000041F4: D1CB0042 050A0D0A
	v_fma_f32 v67, v11, v6, v67                                // 0000000041FC: D1CB0043 050E0D0B
	v_fma_f32 v72, v12, v6, v72                                // 000000004204: D1CB0048 05220D0C
	v_fma_f32 v73, v13, v6, v73                                // 00000000420C: D1CB0049 05260D0D
	v_fma_f32 v74, v14, v6, v74                                // 000000004214: D1CB004A 052A0D0E
	v_fma_f32 v75, v15, v6, v75                                // 00000000421C: D1CB004B 052E0D0F
	s_addk_i32 s80, 0x80                                       // 000000004224: B7500080
	s_cmp_lt_i32 s80, s81                                      // 000000004228: BF045150
	s_cbranch_scc0 label_06E2                                  // 00000000422C: BF8400D6
	s_waitcnt vmcnt(11) lgkmcnt(0)                             // 000000004230: BF8C007B
	v_mul_f32_dpp v4, v26, v36 row_newbcast:0 row_mask:0xf bank_mask:0xf// 000000004234: 0A0848FA FF01501A
	v_mfma_f32_16x16x32_fp8_fp8 v[8:11], a[48:49], a[16:17], 0 // 00000000423C: D3F30008 1A022130
	buffer_load_dword v24, v22, s[32:35], 0 offen              // 000000004244: E0501000 80081816
	v_mfma_f32_16x16x32_fp8_fp8 v[8:11], a[50:51], a[18:19], v[8:11]// 00000000424C: D3F30008 1C222532
	buffer_load_dwordx4 a[32:35], v42, s[24:27], 0 offen       // 000000004254: E05C1000 8086202A
	v_mfma_f32_16x16x32_fp8_fp8 v[8:11], a[52:53], a[20:21], v[8:11]// 00000000425C: D3F30008 1C222934
	v_mfma_f32_16x16x32_fp8_fp8 v[8:11], a[54:55], a[22:23], v[8:11]// 000000004264: D3F30008 1C222D36
	v_mfma_f32_16x16x32_fp8_fp8 v[12:15], a[56:57], a[16:17], 0// 00000000426C: D3F3000C 1A022138
	v_mfma_f32_16x16x32_fp8_fp8 v[12:15], a[58:59], a[18:19], v[12:15]// 000000004274: D3F3000C 1C32253A
	buffer_load_dwordx4 a[36:39], v42, s[24:27], 0 offen offset:1024// 00000000427C: E05C1400 8086242A
	v_mfma_f32_16x16x32_fp8_fp8 v[12:15], a[60:61], a[20:21], v[12:15]// 000000004284: D3F3000C 1C32293C
	v_mfma_f32_16x16x32_fp8_fp8 v[12:15], a[62:63], a[22:23], v[12:15]// 00000000428C: D3F3000C 1C322D3E
	v_fma_f32 v44, v8, v4, v44                                 // 000000004294: D1CB002C 04B20908
	v_fma_f32 v45, v9, v4, v45                                 // 00000000429C: D1CB002D 04B60909
	v_fma_f32 v46, v10, v4, v46                                // 0000000042A4: D1CB002E 04BA090A
	v_fma_f32 v47, v11, v4, v47                                // 0000000042AC: D1CB002F 04BE090B
	v_mul_f32_dpp v6, v26, v37 row_newbcast:0 row_mask:0xf bank_mask:0xf// 0000000042B4: 0A0C4AFA FF01501A
	v_mfma_f32_16x16x32_fp8_fp8 v[8:11], a[48:49], a[24:25], 0 // 0000000042BC: D3F30008 1A023130
	v_mfma_f32_16x16x32_fp8_fp8 v[8:11], a[50:51], a[26:27], v[8:11]// 0000000042C4: D3F30008 1C223532
	buffer_load_dwordx4 a[40:43], v43, s[24:27], 0 offen       // 0000000042CC: E05C1000 8086282B
	v_mfma_f32_16x16x32_fp8_fp8 v[8:11], a[52:53], a[28:29], v[8:11]// 0000000042D4: D3F30008 1C223934
	v_mfma_f32_16x16x32_fp8_fp8 v[8:11], a[54:55], a[30:31], v[8:11]// 0000000042DC: D3F30008 1C223D36
	v_fma_f32 v52, v12, v4, v52                                // 0000000042E4: D1CB0034 04D2090C
	v_fma_f32 v53, v13, v4, v53                                // 0000000042EC: D1CB0035 04D6090D
	v_fma_f32 v54, v14, v4, v54                                // 0000000042F4: D1CB0036 04DA090E
	v_fma_f32 v55, v15, v4, v55                                // 0000000042FC: D1CB0037 04DE090F
	v_mfma_f32_16x16x32_fp8_fp8 v[12:15], a[56:57], a[24:25], 0// 000000004304: D3F3000C 1A023138
	v_mfma_f32_16x16x32_fp8_fp8 v[12:15], a[58:59], a[26:27], v[12:15]// 00000000430C: D3F3000C 1C32353A
	buffer_load_dwordx4 a[44:47], v43, s[24:27], 0 offen offset:1024// 000000004314: E05C1400 80862C2B
	buffer_load_dword v38, s[20:23], 0 offen lds               // 00000000431C: E0511000 80050026
	s_add_u32 m0, 0x100, s49                                   // 000000004324: 807C31FF 00000100
	v_mfma_f32_16x16x32_fp8_fp8 v[12:15], a[60:61], a[28:29], v[12:15]// 00000000432C: D3F3000C 1C32393C
	v_mfma_f32_16x16x32_fp8_fp8 v[12:15], a[62:63], a[30:31], v[12:15]// 000000004334: D3F3000C 1C323D3E
	buffer_load_dword v39, s[20:23], 0 offen lds               // 00000000433C: E0511000 80050027
	s_add_u32 m0, 0x200, s49                                   // 000000004344: 807C31FF 00000200
	v_fma_f32 v48, v8, v6, v48                                 // 00000000434C: D1CB0030 04C20D08
	v_fma_f32 v49, v9, v6, v49                                 // 000000004354: D1CB0031 04C60D09
	v_fma_f32 v50, v10, v6, v50                                // 00000000435C: D1CB0032 04CA0D0A
	v_fma_f32 v51, v11, v6, v51                                // 000000004364: D1CB0033 04CE0D0B
	v_fma_f32 v56, v12, v6, v56                                // 00000000436C: D1CB0038 04E20D0C
	v_fma_f32 v57, v13, v6, v57                                // 000000004374: D1CB0039 04E60D0D
	v_fma_f32 v58, v14, v6, v58                                // 00000000437C: D1CB003A 04EA0D0E
	v_fma_f32 v59, v15, v6, v59                                // 000000004384: D1CB003B 04EE0D0F
	buffer_load_dword v40, s[20:23], 0 offen lds               // 00000000438C: E0511000 80050028
	s_add_u32 m0, 0x300, s49                                   // 000000004394: 807C31FF 00000300
	buffer_load_dword v41, s[20:23], 0 offen lds               // 00000000439C: E0511000 80050029
	s_add_u32 m0, 0, s50                                       // 0000000043A4: 807C3280
	buffer_load_dword v34, v30, s[28:31], 0 offen              // 0000000043A8: E0501000 8007221E
	buffer_load_dword v35, v31, s[28:31], 0 offen              // 0000000043B0: E0501000 8007231F
	s_waitcnt vmcnt(11)                                        // 0000000043B8: BF8C0F7B
	s_barrier                                                  // 0000000043BC: BF8A0000
	v_mul_f32_dpp v4, v29, v36 row_newbcast:0 row_mask:0xf bank_mask:0xf// 0000000043C0: 0A0848FA FF01501D
	v_mfma_f32_16x16x32_fp8_fp8 v[8:11], a[64:65], a[16:17], 0 // 0000000043C8: D3F30008 1A022140
	buffer_load_dword v27, v23, s[32:35], 0 offen              // 0000000043D0: E0501000 80081B17
	v_mfma_f32_16x16x32_fp8_fp8 v[8:11], a[66:67], a[18:19], v[8:11]// 0000000043D8: D3F30008 1C222542
	buffer_load_dwordx4 a[48:51], v42, s[84:87], 0 offen       // 0000000043E0: E05C1000 8095302A
	v_mfma_f32_16x16x32_fp8_fp8 v[8:11], a[68:69], a[20:21], v[8:11]// 0000000043E8: D3F30008 1C222944
	v_mfma_f32_16x16x32_fp8_fp8 v[8:11], a[70:71], a[22:23], v[8:11]// 0000000043F0: D3F30008 1C222D46
	ds_read_b128 a[0:3], v2                                    // 0000000043F8: DBFE0000 00000002
	ds_read_b128 a[4:7], v2 offset:64                          // 000000004400: DBFE0040 04000002
	v_mfma_f32_16x16x32_fp8_fp8 v[12:15], a[72:73], a[16:17], 0// 000000004408: D3F3000C 1A022148
	v_mfma_f32_16x16x32_fp8_fp8 v[12:15], a[74:75], a[18:19], v[12:15]// 000000004410: D3F3000C 1C32254A
	buffer_load_dwordx4 a[52:55], v42, s[84:87], 0 offen offset:1024// 000000004418: E05C1400 8095342A
	v_mfma_f32_16x16x32_fp8_fp8 v[12:15], a[76:77], a[20:21], v[12:15]// 000000004420: D3F3000C 1C32294C
	v_mfma_f32_16x16x32_fp8_fp8 v[12:15], a[78:79], a[22:23], v[12:15]// 000000004428: D3F3000C 1C322D4E
	ds_read_b128 a[8:11], v2 offset:512                        // 000000004430: DBFE0200 08000002
	ds_read_b128 a[12:15], v2 offset:576                       // 000000004438: DBFE0240 0C000002
	v_fma_f32 v60, v8, v4, v60                                 // 000000004440: D1CB003C 04F20908
	v_fma_f32 v61, v9, v4, v61                                 // 000000004448: D1CB003D 04F60909
	v_fma_f32 v62, v10, v4, v62                                // 000000004450: D1CB003E 04FA090A
	v_fma_f32 v63, v11, v4, v63                                // 000000004458: D1CB003F 04FE090B
	v_mul_f32_dpp v6, v29, v37 row_newbcast:0 row_mask:0xf bank_mask:0xf// 000000004460: 0A0C4AFA FF01501D
	v_mfma_f32_16x16x32_fp8_fp8 v[8:11], a[64:65], a[24:25], 0 // 000000004468: D3F30008 1A023140
	s_add_u32 s60, 0x180, s80                                  // 000000004470: 803C50FF 00000180
	s_cmp_lt_u32 s60, s81                                      // 000000004478: BF0A513C
	s_cselect_b32 s57, s57, 0                                  // 00000000447C: 85398039
	s_cselect_b32 s3, s3, 0                                    // 000000004480: 85038003
	v_mfma_f32_16x16x32_fp8_fp8 v[8:11], a[66:67], a[26:27], v[8:11]// 000000004484: D3F30008 1C223542
	buffer_load_dwordx4 a[56:59], v43, s[84:87], 0 offen       // 00000000448C: E05C1000 8095382B
	s_add_u32 s60, 0x100, s80                                  // 000000004494: 803C50FF 00000100
	s_cmp_lt_u32 s60, s81                                      // 00000000449C: BF0A513C
	s_cselect_b32 s58, s58, 0                                  // 0000000044A0: 853A803A
	v_mfma_f32_16x16x32_fp8_fp8 v[8:11], a[68:69], a[28:29], v[8:11]// 0000000044A4: D3F30008 1C223944
	s_add_u32 s60, 0x100, s80                                  // 0000000044AC: 803C50FF 00000100
	s_cmp_lt_u32 s60, s81                                      // 0000000044B4: BF0A513C
	s_cselect_b32 s83, s83, 0                                  // 0000000044B8: 85538053
	s_cselect_b32 s4, s4, 0                                    // 0000000044BC: 85048004
	v_mfma_f32_16x16x32_fp8_fp8 v[8:11], a[70:71], a[30:31], v[8:11]// 0000000044C0: D3F30008 1C223D46
	s_add_u32 s24, s58, s24                                    // 0000000044C8: 8018183A
	s_addc_u32 s25, 0, s25                                     // 0000000044CC: 82191980
	v_fma_f32 v68, v12, v4, v68                                // 0000000044D0: D1CB0044 0512090C
	v_fma_f32 v69, v13, v4, v69                                // 0000000044D8: D1CB0045 0516090D
	v_fma_f32 v70, v14, v4, v70                                // 0000000044E0: D1CB0046 051A090E
	v_fma_f32 v71, v15, v4, v71                                // 0000000044E8: D1CB0047 051E090F
	v_mfma_f32_16x16x32_fp8_fp8 v[12:15], a[72:73], a[24:25], 0// 0000000044F0: D3F3000C 1A023148
	s_add_u32 s20, s57, s20                                    // 0000000044F8: 80141439
	s_addc_u32 s21, 0, s21                                     // 0000000044FC: 82151580
	s_add_u32 s28, s3, s28                                     // 000000004500: 801C1C03
	s_addc_u32 s29, 0, s29                                     // 000000004504: 821D1D80
	v_mfma_f32_16x16x32_fp8_fp8 v[12:15], a[74:75], a[26:27], v[12:15]// 000000004508: D3F3000C 1C32354A
	buffer_load_dwordx4 a[60:63], v43, s[84:87], 0 offen offset:1024// 000000004510: E05C1400 80953C2B
	s_add_u32 s84, s83, s84                                    // 000000004518: 80545453
	s_addc_u32 s85, 0, s85                                     // 00000000451C: 82555580
	v_mfma_f32_16x16x32_fp8_fp8 v[12:15], a[76:77], a[28:29], v[12:15]// 000000004520: D3F3000C 1C32394C
	s_add_u32 s32, s4, s32                                     // 000000004528: 80202004
	s_addc_u32 s33, 0, s33                                     // 00000000452C: 82212180
	v_mfma_f32_16x16x32_fp8_fp8 v[12:15], a[78:79], a[30:31], v[12:15]// 000000004530: D3F3000C 1C323D4E
	v_fma_f32 v64, v8, v6, v64                                 // 000000004538: D1CB0040 05020D08
	v_fma_f32 v65, v9, v6, v65                                 // 000000004540: D1CB0041 05060D09
	v_fma_f32 v66, v10, v6, v66                                // 000000004548: D1CB0042 050A0D0A
	v_fma_f32 v67, v11, v6, v67                                // 000000004550: D1CB0043 050E0D0B
	v_fma_f32 v72, v12, v6, v72                                // 000000004558: D1CB0048 05220D0C
	v_fma_f32 v73, v13, v6, v73                                // 000000004560: D1CB0049 05260D0D
	v_fma_f32 v74, v14, v6, v74                                // 000000004568: D1CB004A 052A0D0E
	v_fma_f32 v75, v15, v6, v75                                // 000000004570: D1CB004B 052E0D0F
	s_addk_i32 s80, 0x80                                       // 000000004578: B7500080
	s_cmp_lt_i32 s80, s81                                      // 00000000457C: BF045150
	s_cbranch_scc0 label_06E2                                  // 000000004580: BF840001
	s_branch label_01E3                                        // 000000004584: BF82FB01

0000000000004588 <label_06E2>:
	s_cmp_eq_u32 s88, 0                                        // 000000004588: BF068058
	s_cbranch_scc0 label_09C9                                  // 00000000458C: BF8402E5
	s_cmp_eq_u32 s89, 0                                        // 000000004590: BF068059
	s_cbranch_scc1 label_078B                                  // 000000004594: BF8500A5
	v_mov_b32_e32 v8, v1                                       // 000000004598: 7E100301
	v_mov_b32_e32 v9, v1                                       // 00000000459C: 7E120301
	s_mov_b32 s60, s6                                          // 0000000045A0: BEBC0006
	s_mov_b32 s61, s6                                          // 0000000045A4: BEBD0006
	v_pk_mul_f32 v[4:5], v[44:45], v[44:45]                    // 0000000045A8: D3B14004 1802592C
	v_pk_mul_f32 v[6:7], v[46:47], v[46:47]                    // 0000000045B0: D3B14006 18025D2E
	v_pk_fma_f32 v[4:5], v[4:5], s[78:79], v[8:9]              // 0000000045B8: D3B04004 1C209D04
	v_pk_fma_f32 v[6:7], v[6:7], s[78:79], v[8:9]              // 0000000045C0: D3B04006 1C209D06
	v_pk_mul_f32 v[4:5], v[4:5], v[44:45]                      // 0000000045C8: D3B14004 18025904
	v_pk_mul_f32 v[6:7], v[6:7], v[46:47]                      // 0000000045D0: D3B14006 18025D06
	v_pk_mul_f32 v[4:5], v[4:5], s[60:61]                      // 0000000045D8: D3B14004 18007904
	v_pk_mul_f32 v[6:7], v[6:7], s[60:61]                      // 0000000045E0: D3B14006 18007906
	v_exp_f32_e32 v4, v4                                       // 0000000045E8: 7E084104
	v_exp_f32_e32 v5, v5                                       // 0000000045EC: 7E0A4105
	v_exp_f32_e32 v6, v6                                       // 0000000045F0: 7E0C4106
	v_exp_f32_e32 v7, v7                                       // 0000000045F4: 7E0E4107
	v_add_f32_e64 v4, v4, 1.0                                  // 0000000045F8: D1010004 0001E504
	v_add_f32_e64 v5, v5, 1.0                                  // 000000004600: D1010005 0001E505
	v_add_f32_e64 v6, v6, 1.0                                  // 000000004608: D1010006 0001E506
	v_add_f32_e64 v7, v7, 1.0                                  // 000000004610: D1010007 0001E507
	v_rcp_f32_e32 v4, v4                                       // 000000004618: 7E084504
	v_rcp_f32_e32 v5, v5                                       // 00000000461C: 7E0A4505
	v_rcp_f32_e32 v6, v6                                       // 000000004620: 7E0C4506
	v_rcp_f32_e32 v7, v7                                       // 000000004624: 7E0E4507
	v_mul_f32_e32 v44, v44, v4                                 // 000000004628: 0A58092C
	v_mul_f32_e32 v45, v45, v5                                 // 00000000462C: 0A5A0B2D
	v_mul_f32_e32 v46, v46, v6                                 // 000000004630: 0A5C0D2E
	v_mul_f32_e32 v47, v47, v7                                 // 000000004634: 0A5E0F2F
	v_mul_f32_e32 v44, v44, v60                                // 000000004638: 0A58792C
	v_mul_f32_e32 v45, v45, v61                                // 00000000463C: 0A5A7B2D
	v_mul_f32_e32 v46, v46, v62                                // 000000004640: 0A5C7D2E
	v_mul_f32_e32 v47, v47, v63                                // 000000004644: 0A5E7F2F
	v_pk_mul_f32 v[4:5], v[48:49], v[48:49]                    // 000000004648: D3B14004 18026130
	v_pk_mul_f32 v[6:7], v[50:51], v[50:51]                    // 000000004650: D3B14006 18026532
	v_pk_fma_f32 v[4:5], v[4:5], s[78:79], v[8:9]              // 000000004658: D3B04004 1C209D04
	v_pk_fma_f32 v[6:7], v[6:7], s[78:79], v[8:9]              // 000000004660: D3B04006 1C209D06
	v_pk_mul_f32 v[4:5], v[4:5], v[48:49]                      // 000000004668: D3B14004 18026104
	v_pk_mul_f32 v[6:7], v[6:7], v[50:51]                      // 000000004670: D3B14006 18026506
	v_pk_mul_f32 v[4:5], v[4:5], s[60:61]                      // 000000004678: D3B14004 18007904
	v_pk_mul_f32 v[6:7], v[6:7], s[60:61]                      // 000000004680: D3B14006 18007906
	v_exp_f32_e32 v4, v4                                       // 000000004688: 7E084104
	v_exp_f32_e32 v5, v5                                       // 00000000468C: 7E0A4105
	v_exp_f32_e32 v6, v6                                       // 000000004690: 7E0C4106
	v_exp_f32_e32 v7, v7                                       // 000000004694: 7E0E4107
	v_add_f32_e64 v4, v4, 1.0                                  // 000000004698: D1010004 0001E504
	v_add_f32_e64 v5, v5, 1.0                                  // 0000000046A0: D1010005 0001E505
	v_add_f32_e64 v6, v6, 1.0                                  // 0000000046A8: D1010006 0001E506
	v_add_f32_e64 v7, v7, 1.0                                  // 0000000046B0: D1010007 0001E507
	v_rcp_f32_e32 v4, v4                                       // 0000000046B8: 7E084504
	v_rcp_f32_e32 v5, v5                                       // 0000000046BC: 7E0A4505
	v_rcp_f32_e32 v6, v6                                       // 0000000046C0: 7E0C4506
	v_rcp_f32_e32 v7, v7                                       // 0000000046C4: 7E0E4507
	v_mul_f32_e32 v48, v48, v4                                 // 0000000046C8: 0A600930
	v_mul_f32_e32 v49, v49, v5                                 // 0000000046CC: 0A620B31
	v_mul_f32_e32 v50, v50, v6                                 // 0000000046D0: 0A640D32
	v_mul_f32_e32 v51, v51, v7                                 // 0000000046D4: 0A660F33
	v_mul_f32_e32 v48, v48, v64                                // 0000000046D8: 0A608130
	v_mul_f32_e32 v49, v49, v65                                // 0000000046DC: 0A628331
	v_mul_f32_e32 v50, v50, v66                                // 0000000046E0: 0A648532
	v_mul_f32_e32 v51, v51, v67                                // 0000000046E4: 0A668733
	v_pk_mul_f32 v[4:5], v[52:53], v[52:53]                    // 0000000046E8: D3B14004 18026934
	v_pk_mul_f32 v[6:7], v[54:55], v[54:55]                    // 0000000046F0: D3B14006 18026D36
	v_pk_fma_f32 v[4:5], v[4:5], s[78:79], v[8:9]              // 0000000046F8: D3B04004 1C209D04
	v_pk_fma_f32 v[6:7], v[6:7], s[78:79], v[8:9]              // 000000004700: D3B04006 1C209D06
	v_pk_mul_f32 v[4:5], v[4:5], v[52:53]                      // 000000004708: D3B14004 18026904
	v_pk_mul_f32 v[6:7], v[6:7], v[54:55]                      // 000000004710: D3B14006 18026D06
	v_pk_mul_f32 v[4:5], v[4:5], s[60:61]                      // 000000004718: D3B14004 18007904
	v_pk_mul_f32 v[6:7], v[6:7], s[60:61]                      // 000000004720: D3B14006 18007906
	v_exp_f32_e32 v4, v4                                       // 000000004728: 7E084104
	v_exp_f32_e32 v5, v5                                       // 00000000472C: 7E0A4105
	v_exp_f32_e32 v6, v6                                       // 000000004730: 7E0C4106
	v_exp_f32_e32 v7, v7                                       // 000000004734: 7E0E4107
	v_add_f32_e64 v4, v4, 1.0                                  // 000000004738: D1010004 0001E504
	v_add_f32_e64 v5, v5, 1.0                                  // 000000004740: D1010005 0001E505
	v_add_f32_e64 v6, v6, 1.0                                  // 000000004748: D1010006 0001E506
	v_add_f32_e64 v7, v7, 1.0                                  // 000000004750: D1010007 0001E507
	v_rcp_f32_e32 v4, v4                                       // 000000004758: 7E084504
	v_rcp_f32_e32 v5, v5                                       // 00000000475C: 7E0A4505
	v_rcp_f32_e32 v6, v6                                       // 000000004760: 7E0C4506
	v_rcp_f32_e32 v7, v7                                       // 000000004764: 7E0E4507
	v_mul_f32_e32 v52, v52, v4                                 // 000000004768: 0A680934
	v_mul_f32_e32 v53, v53, v5                                 // 00000000476C: 0A6A0B35
	v_mul_f32_e32 v54, v54, v6                                 // 000000004770: 0A6C0D36
	v_mul_f32_e32 v55, v55, v7                                 // 000000004774: 0A6E0F37
	v_mul_f32_e32 v52, v52, v68                                // 000000004778: 0A688934
	v_mul_f32_e32 v53, v53, v69                                // 00000000477C: 0A6A8B35
	v_mul_f32_e32 v54, v54, v70                                // 000000004780: 0A6C8D36
	v_mul_f32_e32 v55, v55, v71                                // 000000004784: 0A6E8F37
	v_pk_mul_f32 v[4:5], v[56:57], v[56:57]                    // 000000004788: D3B14004 18027138
	v_pk_mul_f32 v[6:7], v[58:59], v[58:59]                    // 000000004790: D3B14006 1802753A
	v_pk_fma_f32 v[4:5], v[4:5], s[78:79], v[8:9]              // 000000004798: D3B04004 1C209D04
	v_pk_fma_f32 v[6:7], v[6:7], s[78:79], v[8:9]              // 0000000047A0: D3B04006 1C209D06
	v_pk_mul_f32 v[4:5], v[4:5], v[56:57]                      // 0000000047A8: D3B14004 18027104
	v_pk_mul_f32 v[6:7], v[6:7], v[58:59]                      // 0000000047B0: D3B14006 18027506
	v_pk_mul_f32 v[4:5], v[4:5], s[60:61]                      // 0000000047B8: D3B14004 18007904
	v_pk_mul_f32 v[6:7], v[6:7], s[60:61]                      // 0000000047C0: D3B14006 18007906
	v_exp_f32_e32 v4, v4                                       // 0000000047C8: 7E084104
	v_exp_f32_e32 v5, v5                                       // 0000000047CC: 7E0A4105
	v_exp_f32_e32 v6, v6                                       // 0000000047D0: 7E0C4106
	v_exp_f32_e32 v7, v7                                       // 0000000047D4: 7E0E4107
	v_add_f32_e64 v4, v4, 1.0                                  // 0000000047D8: D1010004 0001E504
	v_add_f32_e64 v5, v5, 1.0                                  // 0000000047E0: D1010005 0001E505
	v_add_f32_e64 v6, v6, 1.0                                  // 0000000047E8: D1010006 0001E506
	v_add_f32_e64 v7, v7, 1.0                                  // 0000000047F0: D1010007 0001E507
	v_rcp_f32_e32 v4, v4                                       // 0000000047F8: 7E084504
	v_rcp_f32_e32 v5, v5                                       // 0000000047FC: 7E0A4505
	v_rcp_f32_e32 v6, v6                                       // 000000004800: 7E0C4506
	v_rcp_f32_e32 v7, v7                                       // 000000004804: 7E0E4507
	v_mul_f32_e32 v56, v56, v4                                 // 000000004808: 0A700938
	v_mul_f32_e32 v57, v57, v5                                 // 00000000480C: 0A720B39
	v_mul_f32_e32 v58, v58, v6                                 // 000000004810: 0A740D3A
	v_mul_f32_e32 v59, v59, v7                                 // 000000004814: 0A760F3B
	v_mul_f32_e32 v56, v56, v72                                // 000000004818: 0A709138
	v_mul_f32_e32 v57, v57, v73                                // 00000000481C: 0A729339
	v_mul_f32_e32 v58, v58, v74                                // 000000004820: 0A74953A
	v_mul_f32_e32 v59, v59, v75                                // 000000004824: 0A76973B
	s_branch label_080B                                        // 000000004828: BF820080

000000000000482c <label_078B>:
	v_mul_f32_e64 v4, -v44, s6                                 // 00000000482C: D1050004 20000D2C
	v_mul_f32_e64 v5, -v45, s6                                 // 000000004834: D1050005 20000D2D
	v_mul_f32_e64 v6, -v46, s6                                 // 00000000483C: D1050006 20000D2E
	v_mul_f32_e64 v7, -v47, s6                                 // 000000004844: D1050007 20000D2F
	v_exp_f32_e32 v4, v4                                       // 00000000484C: 7E084104
	v_exp_f32_e32 v5, v5                                       // 000000004850: 7E0A4105
	v_exp_f32_e32 v6, v6                                       // 000000004854: 7E0C4106
	v_exp_f32_e32 v7, v7                                       // 000000004858: 7E0E4107
	v_add_f32_e64 v4, v4, 1.0                                  // 00000000485C: D1010004 0001E504
	v_add_f32_e64 v5, v5, 1.0                                  // 000000004864: D1010005 0001E505
	v_add_f32_e64 v6, v6, 1.0                                  // 00000000486C: D1010006 0001E506
	v_add_f32_e64 v7, v7, 1.0                                  // 000000004874: D1010007 0001E507
	v_rcp_f32_e32 v4, v4                                       // 00000000487C: 7E084504
	v_rcp_f32_e32 v5, v5                                       // 000000004880: 7E0A4505
	v_rcp_f32_e32 v6, v6                                       // 000000004884: 7E0C4506
	v_rcp_f32_e32 v7, v7                                       // 000000004888: 7E0E4507
	v_mul_f32_e32 v44, v44, v4                                 // 00000000488C: 0A58092C
	v_mul_f32_e32 v45, v45, v5                                 // 000000004890: 0A5A0B2D
	v_mul_f32_e32 v46, v46, v6                                 // 000000004894: 0A5C0D2E
	v_mul_f32_e32 v47, v47, v7                                 // 000000004898: 0A5E0F2F
	v_mul_f32_e32 v44, v44, v60                                // 00000000489C: 0A58792C
	v_mul_f32_e32 v45, v45, v61                                // 0000000048A0: 0A5A7B2D
	v_mul_f32_e32 v46, v46, v62                                // 0000000048A4: 0A5C7D2E
	v_mul_f32_e32 v47, v47, v63                                // 0000000048A8: 0A5E7F2F
	v_mul_f32_e64 v4, -v48, s6                                 // 0000000048AC: D1050004 20000D30
	v_mul_f32_e64 v5, -v49, s6                                 // 0000000048B4: D1050005 20000D31
	v_mul_f32_e64 v6, -v50, s6                                 // 0000000048BC: D1050006 20000D32
	v_mul_f32_e64 v7, -v51, s6                                 // 0000000048C4: D1050007 20000D33
	v_exp_f32_e32 v4, v4                                       // 0000000048CC: 7E084104
	v_exp_f32_e32 v5, v5                                       // 0000000048D0: 7E0A4105
	v_exp_f32_e32 v6, v6                                       // 0000000048D4: 7E0C4106
	v_exp_f32_e32 v7, v7                                       // 0000000048D8: 7E0E4107
	v_add_f32_e64 v4, v4, 1.0                                  // 0000000048DC: D1010004 0001E504
	v_add_f32_e64 v5, v5, 1.0                                  // 0000000048E4: D1010005 0001E505
	v_add_f32_e64 v6, v6, 1.0                                  // 0000000048EC: D1010006 0001E506
	v_add_f32_e64 v7, v7, 1.0                                  // 0000000048F4: D1010007 0001E507
	v_rcp_f32_e32 v4, v4                                       // 0000000048FC: 7E084504
	v_rcp_f32_e32 v5, v5                                       // 000000004900: 7E0A4505
	v_rcp_f32_e32 v6, v6                                       // 000000004904: 7E0C4506
	v_rcp_f32_e32 v7, v7                                       // 000000004908: 7E0E4507
	v_mul_f32_e32 v48, v48, v4                                 // 00000000490C: 0A600930
	v_mul_f32_e32 v49, v49, v5                                 // 000000004910: 0A620B31
	v_mul_f32_e32 v50, v50, v6                                 // 000000004914: 0A640D32
	v_mul_f32_e32 v51, v51, v7                                 // 000000004918: 0A660F33
	v_mul_f32_e32 v48, v48, v64                                // 00000000491C: 0A608130
	v_mul_f32_e32 v49, v49, v65                                // 000000004920: 0A628331
	v_mul_f32_e32 v50, v50, v66                                // 000000004924: 0A648532
	v_mul_f32_e32 v51, v51, v67                                // 000000004928: 0A668733
	v_mul_f32_e64 v4, -v52, s6                                 // 00000000492C: D1050004 20000D34
	v_mul_f32_e64 v5, -v53, s6                                 // 000000004934: D1050005 20000D35
	v_mul_f32_e64 v6, -v54, s6                                 // 00000000493C: D1050006 20000D36
	v_mul_f32_e64 v7, -v55, s6                                 // 000000004944: D1050007 20000D37
	v_exp_f32_e32 v4, v4                                       // 00000000494C: 7E084104
	v_exp_f32_e32 v5, v5                                       // 000000004950: 7E0A4105
	v_exp_f32_e32 v6, v6                                       // 000000004954: 7E0C4106
	v_exp_f32_e32 v7, v7                                       // 000000004958: 7E0E4107
	v_add_f32_e64 v4, v4, 1.0                                  // 00000000495C: D1010004 0001E504
	v_add_f32_e64 v5, v5, 1.0                                  // 000000004964: D1010005 0001E505
	v_add_f32_e64 v6, v6, 1.0                                  // 00000000496C: D1010006 0001E506
	v_add_f32_e64 v7, v7, 1.0                                  // 000000004974: D1010007 0001E507
	v_rcp_f32_e32 v4, v4                                       // 00000000497C: 7E084504
	v_rcp_f32_e32 v5, v5                                       // 000000004980: 7E0A4505
	v_rcp_f32_e32 v6, v6                                       // 000000004984: 7E0C4506
	v_rcp_f32_e32 v7, v7                                       // 000000004988: 7E0E4507
	v_mul_f32_e32 v52, v52, v4                                 // 00000000498C: 0A680934
	v_mul_f32_e32 v53, v53, v5                                 // 000000004990: 0A6A0B35
	v_mul_f32_e32 v54, v54, v6                                 // 000000004994: 0A6C0D36
	v_mul_f32_e32 v55, v55, v7                                 // 000000004998: 0A6E0F37
	v_mul_f32_e32 v52, v52, v68                                // 00000000499C: 0A688934
	v_mul_f32_e32 v53, v53, v69                                // 0000000049A0: 0A6A8B35
	v_mul_f32_e32 v54, v54, v70                                // 0000000049A4: 0A6C8D36
	v_mul_f32_e32 v55, v55, v71                                // 0000000049A8: 0A6E8F37
	v_mul_f32_e64 v4, -v56, s6                                 // 0000000049AC: D1050004 20000D38
	v_mul_f32_e64 v5, -v57, s6                                 // 0000000049B4: D1050005 20000D39
	v_mul_f32_e64 v6, -v58, s6                                 // 0000000049BC: D1050006 20000D3A
	v_mul_f32_e64 v7, -v59, s6                                 // 0000000049C4: D1050007 20000D3B
	v_exp_f32_e32 v4, v4                                       // 0000000049CC: 7E084104
	v_exp_f32_e32 v5, v5                                       // 0000000049D0: 7E0A4105
	v_exp_f32_e32 v6, v6                                       // 0000000049D4: 7E0C4106
	v_exp_f32_e32 v7, v7                                       // 0000000049D8: 7E0E4107
	v_add_f32_e64 v4, v4, 1.0                                  // 0000000049DC: D1010004 0001E504
	v_add_f32_e64 v5, v5, 1.0                                  // 0000000049E4: D1010005 0001E505
	v_add_f32_e64 v6, v6, 1.0                                  // 0000000049EC: D1010006 0001E506
	v_add_f32_e64 v7, v7, 1.0                                  // 0000000049F4: D1010007 0001E507
	v_rcp_f32_e32 v4, v4                                       // 0000000049FC: 7E084504
	v_rcp_f32_e32 v5, v5                                       // 000000004A00: 7E0A4505
	v_rcp_f32_e32 v6, v6                                       // 000000004A04: 7E0C4506
	v_rcp_f32_e32 v7, v7                                       // 000000004A08: 7E0E4507
	v_mul_f32_e32 v56, v56, v4                                 // 000000004A0C: 0A700938
	v_mul_f32_e32 v57, v57, v5                                 // 000000004A10: 0A720B39
	v_mul_f32_e32 v58, v58, v6                                 // 000000004A14: 0A740D3A
	v_mul_f32_e32 v59, v59, v7                                 // 000000004A18: 0A760F3B
	v_mul_f32_e32 v56, v56, v72                                // 000000004A1C: 0A709138
	v_mul_f32_e32 v57, v57, v73                                // 000000004A20: 0A729339
	v_mul_f32_e32 v58, v58, v74                                // 000000004A24: 0A74953A
	v_mul_f32_e32 v59, v59, v75                                // 000000004A28: 0A76973B

0000000000004a2c <label_080B>:
	s_cmp_eq_u32 s7, 0                                         // 000000004A2C: BF068007
	s_cbranch_scc0 label_0815                                  // 000000004A30: BF840008
	v_and_b32_e32 v4, 15, v0                                   // 000000004A34: 2608008F
	v_lshlrev_b32_e32 v4, 2, v4                                // 000000004A38: 24080882
	buffer_load_dword v30, v4, s[12:15], 0 offen               // 000000004A3C: E0501000 80031E04
	v_add_u32_e32 v4, 64, v4                                   // 000000004A44: 680808C0
	buffer_load_dword v31, v4, s[12:15], 0 offen               // 000000004A48: E0501000 80031F04
	v_add_u32_e32 v4, 64, v4                                   // 000000004A50: 680808C0

0000000000004a54 <label_0815>:
	v_lshlrev_b32_e32 v4, 2, v0                                // 000000004A54: 24080082
	s_mul_i32 s60, 0x100, s7                                   // 000000004A58: 923C07FF 00000100
	v_add_u32_e32 v62, s60, v4                                 // 000000004A60: 687C083C
	v_and_b32_e32 v4, 15, v0                                   // 000000004A64: 2608008F
	v_lshlrev_b32_e32 v63, 2, v4                               // 000000004A68: 247E0882
	s_waitcnt lgkmcnt(0)                                       // 000000004A6C: BF8CC07F
	s_barrier                                                  // 000000004A70: BF8A0000
	v_mov_b32_e32 v60, 0x358637bd                              // 000000004A74: 7E7802FF 358637BD
	v_max3_f32 v60, |v44|, |v45|, v60                          // 000000004A7C: D1D3033C 04F25B2C
	v_max3_f32 v60, |v46|, |v47|, v60                          // 000000004A84: D1D3033C 04F25F2E
	v_max3_f32 v60, |v52|, |v53|, v60                          // 000000004A8C: D1D3033C 04F26B34
	v_max3_f32 v60, |v54|, |v55|, v60                          // 000000004A94: D1D3033C 04F26F36
	ds_write_b32 v62, v60                                      // 000000004A9C: D81A0000 00003C3E
	s_waitcnt lgkmcnt(0)                                       // 000000004AA4: BF8CC07F
	s_barrier                                                  // 000000004AA8: BF8A0000
	ds_read_b32 v4, v63                                        // 000000004AAC: D86C0000 0400003F
	ds_read_b32 v5, v63 offset:64                              // 000000004AB4: D86C0040 0500003F
	ds_read_b32 v6, v63 offset:128                             // 000000004ABC: D86C0080 0600003F
	ds_read_b32 v7, v63 offset:192                             // 000000004AC4: D86C00C0 0700003F
	ds_read_b32 v8, v63 offset:256                             // 000000004ACC: D86C0100 0800003F
	ds_read_b32 v9, v63 offset:320                             // 000000004AD4: D86C0140 0900003F
	ds_read_b32 v10, v63 offset:384                            // 000000004ADC: D86C0180 0A00003F
	ds_read_b32 v11, v63 offset:448                            // 000000004AE4: D86C01C0 0B00003F
	ds_read_b32 v12, v63 offset:512                            // 000000004AEC: D86C0200 0C00003F
	ds_read_b32 v13, v63 offset:576                            // 000000004AF4: D86C0240 0D00003F
	ds_read_b32 v14, v63 offset:640                            // 000000004AFC: D86C0280 0E00003F
	ds_read_b32 v15, v63 offset:704                            // 000000004B04: D86C02C0 0F00003F
	ds_read_b32 v16, v63 offset:768                            // 000000004B0C: D86C0300 1000003F
	ds_read_b32 v17, v63 offset:832                            // 000000004B14: D86C0340 1100003F
	ds_read_b32 v18, v63 offset:896                            // 000000004B1C: D86C0380 1200003F
	ds_read_b32 v19, v63 offset:960                            // 000000004B24: D86C03C0 1300003F
	s_waitcnt lgkmcnt(0)                                       // 000000004B2C: BF8CC07F
	s_barrier                                                  // 000000004B30: BF8A0000
	v_max3_f32 v60, |v4|, |v5|, v60                            // 000000004B34: D1D3033C 04F20B04
	v_max3_f32 v60, |v6|, |v7|, v60                            // 000000004B3C: D1D3033C 04F20F06
	v_max3_f32 v60, |v8|, |v9|, v60                            // 000000004B44: D1D3033C 04F21308
	v_max3_f32 v60, |v10|, |v11|, v60                          // 000000004B4C: D1D3033C 04F2170A
	v_max3_f32 v60, |v12|, |v13|, v60                          // 000000004B54: D1D3033C 04F21B0C
	v_max3_f32 v60, |v14|, |v15|, v60                          // 000000004B5C: D1D3033C 04F21F0E
	v_max3_f32 v60, |v16|, |v17|, v60                          // 000000004B64: D1D3033C 04F22310
	v_max3_f32 v60, |v18|, |v19|, v60                          // 000000004B6C: D1D3033C 04F22712
	v_rcp_f32_e32 v60, v60                                     // 000000004B74: 7E78453C
	v_mov_b32_e32 v4, 0x43700000                               // 000000004B78: 7E0802FF 43700000
	v_mul_f32_e32 v60, v4, v60                                 // 000000004B80: 0A787904
	v_mov_b32_e32 v4, v60                                      // 000000004B84: 7E08033C
	v_mov_b32_e32 v5, v4                                       // 000000004B88: 7E0A0304
	v_pk_mul_f32 v[44:45], v[4:5], v[44:45]                    // 000000004B8C: D3B1402C 18025904
	v_pk_mul_f32 v[46:47], v[4:5], v[46:47]                    // 000000004B94: D3B1402E 18025D04
	v_cvt_pk_fp8_f32 v44, v44, v45                             // 000000004B9C: D2A2002C 00025B2C
	v_cvt_pk_fp8_f32 v44, v46, v47 op_sel:[0,0,1]              // 000000004BA4: D2A2402C 00025F2E
	v_pk_mul_f32 v[52:53], v[4:5], v[52:53]                    // 000000004BAC: D3B14034 18026904
	v_pk_mul_f32 v[54:55], v[4:5], v[54:55]                    // 000000004BB4: D3B14036 18026D04
	v_cvt_pk_fp8_f32 v52, v52, v53                             // 000000004BBC: D2A20034 00026B34
	v_cvt_pk_fp8_f32 v52, v54, v55 op_sel:[0,0,1]              // 000000004BC4: D2A24034 00026F36
	v_rcp_f32_e32 v60, v60                                     // 000000004BCC: 7E78453C
	v_mov_b32_e32 v61, 0x358637bd                              // 000000004BD0: 7E7A02FF 358637BD
	v_max3_f32 v61, |v48|, |v49|, v61                          // 000000004BD8: D1D3033D 04F66330
	v_max3_f32 v61, |v50|, |v51|, v61                          // 000000004BE0: D1D3033D 04F66732
	v_max3_f32 v61, |v56|, |v57|, v61                          // 000000004BE8: D1D3033D 04F67338
	v_max3_f32 v61, |v58|, |v59|, v61                          // 000000004BF0: D1D3033D 04F6773A
	ds_write_b32 v62, v61                                      // 000000004BF8: D81A0000 00003D3E
	s_waitcnt lgkmcnt(0)                                       // 000000004C00: BF8CC07F
	s_barrier                                                  // 000000004C04: BF8A0000
	ds_read_b32 v4, v63                                        // 000000004C08: D86C0000 0400003F
	ds_read_b32 v5, v63 offset:64                              // 000000004C10: D86C0040 0500003F
	ds_read_b32 v6, v63 offset:128                             // 000000004C18: D86C0080 0600003F
	ds_read_b32 v7, v63 offset:192                             // 000000004C20: D86C00C0 0700003F
	ds_read_b32 v8, v63 offset:256                             // 000000004C28: D86C0100 0800003F
	ds_read_b32 v9, v63 offset:320                             // 000000004C30: D86C0140 0900003F
	ds_read_b32 v10, v63 offset:384                            // 000000004C38: D86C0180 0A00003F
	ds_read_b32 v11, v63 offset:448                            // 000000004C40: D86C01C0 0B00003F
	ds_read_b32 v12, v63 offset:512                            // 000000004C48: D86C0200 0C00003F
	ds_read_b32 v13, v63 offset:576                            // 000000004C50: D86C0240 0D00003F
	ds_read_b32 v14, v63 offset:640                            // 000000004C58: D86C0280 0E00003F
	ds_read_b32 v15, v63 offset:704                            // 000000004C60: D86C02C0 0F00003F
	ds_read_b32 v16, v63 offset:768                            // 000000004C68: D86C0300 1000003F
	ds_read_b32 v17, v63 offset:832                            // 000000004C70: D86C0340 1100003F
	ds_read_b32 v18, v63 offset:896                            // 000000004C78: D86C0380 1200003F
	ds_read_b32 v19, v63 offset:960                            // 000000004C80: D86C03C0 1300003F
	s_waitcnt lgkmcnt(0)                                       // 000000004C88: BF8CC07F
	s_barrier                                                  // 000000004C8C: BF8A0000
	v_max3_f32 v61, |v4|, |v5|, v61                            // 000000004C90: D1D3033D 04F60B04
	v_max3_f32 v61, |v6|, |v7|, v61                            // 000000004C98: D1D3033D 04F60F06
	v_max3_f32 v61, |v8|, |v9|, v61                            // 000000004CA0: D1D3033D 04F61308
	v_max3_f32 v61, |v10|, |v11|, v61                          // 000000004CA8: D1D3033D 04F6170A
	v_max3_f32 v61, |v12|, |v13|, v61                          // 000000004CB0: D1D3033D 04F61B0C
	v_max3_f32 v61, |v14|, |v15|, v61                          // 000000004CB8: D1D3033D 04F61F0E
	v_max3_f32 v61, |v16|, |v17|, v61                          // 000000004CC0: D1D3033D 04F62310
	v_max3_f32 v61, |v18|, |v19|, v61                          // 000000004CC8: D1D3033D 04F62712
	v_rcp_f32_e32 v61, v61                                     // 000000004CD0: 7E7A453D
	v_mov_b32_e32 v4, 0x43700000                               // 000000004CD4: 7E0802FF 43700000
	v_mul_f32_e32 v61, v4, v61                                 // 000000004CDC: 0A7A7B04
	v_mov_b32_e32 v4, v61                                      // 000000004CE0: 7E08033D
	v_mov_b32_e32 v5, v4                                       // 000000004CE4: 7E0A0304
	v_pk_mul_f32 v[48:49], v[4:5], v[48:49]                    // 000000004CE8: D3B14030 18026104
	v_pk_mul_f32 v[50:51], v[4:5], v[50:51]                    // 000000004CF0: D3B14032 18026504
	v_cvt_pk_fp8_f32 v48, v48, v49                             // 000000004CF8: D2A20030 00026330
	v_cvt_pk_fp8_f32 v48, v50, v51 op_sel:[0,0,1]              // 000000004D00: D2A24030 00026732
	v_pk_mul_f32 v[56:57], v[4:5], v[56:57]                    // 000000004D08: D3B14038 18027104
	v_pk_mul_f32 v[58:59], v[4:5], v[58:59]                    // 000000004D10: D3B1403A 18027504
	v_cvt_pk_fp8_f32 v56, v56, v57                             // 000000004D18: D2A20038 00027338
	v_cvt_pk_fp8_f32 v56, v58, v59 op_sel:[0,0,1]              // 000000004D20: D2A24038 0002773A
	v_rcp_f32_e32 v61, v61                                     // 000000004D28: 7E7A453D
	v_lshrrev_b32_e32 v4, 5, v0                                // 000000004D2C: 20080085
	v_mul_lo_u32 v20, 34, v4                                   // 000000004D30: D2850014 000208A2
	v_and_b32_e32 v4, 31, v0                                   // 000000004D38: 2608009F
	v_lshrrev_b32_e32 v5, 4, v4                                // 000000004D3C: 200A0884
	v_add_u32_e32 v20, v5, v20                                 // 000000004D40: 68282905
	v_and_b32_e32 v4, 15, v0                                   // 000000004D44: 2608008F
	v_mul_lo_u32 v5, 2, v4                                     // 000000004D48: D2850005 00020882
	v_add_u32_e32 v20, v5, v20                                 // 000000004D50: 68282905
	s_mul_i32 s60, s7, 0x44                                    // 000000004D54: 923CFF07 00000044
	v_add_u32_e32 v20, s60, v20                                // 000000004D5C: 6828283C
	v_lshlrev_b32_e32 v20, 2, v20                              // 000000004D60: 24282882
	ds_write_b32 v20, v44                                      // 000000004D64: D81A0000 00002C14
	ds_write_b32 v20, v48 offset:2176                          // 000000004D6C: D81A0880 00003014
	ds_write_b32 v20, v52 offset:1088                          // 000000004D74: D81A0440 00003414
	ds_write_b32 v20, v56 offset:3264                          // 000000004D7C: D81A0CC0 00003814
	v_lshrrev_b32_e32 v4, 5, v0                                // 000000004D84: 20080085
	v_xor_b32_e32 v5, 1, v4                                    // 000000004D88: 2A0A0881
	s_mul_i32 s60, s65, 1                                      // 000000004D8C: 923C8141
	s_cmp_eq_u32 s88, 0                                        // 000000004D90: BF068058
	s_cselect_b32 s61, 1, 8                                    // 000000004D94: 853D8881
	s_mul_i32 s60, s61, s60                                    // 000000004D98: 923C3C3D
	v_readlane_b32 s82, v3, 0                                  // 000000004D9C: D2890052 00010103
	s_lshr_b32 s61, s82, 24                                    // 000000004DA4: 8F3D9852
	s_and_b32 s82, s82, 0xffffff                               // 000000004DA8: 8652FF52 00FFFFFF
	s_mul_i32 s82, s82, s71                                    // 000000004DB0: 92524752
	s_mul_i32 s61, s60, s61                                    // 000000004DB4: 923D3D3C
	s_add_u32 s82, s82, s61                                    // 000000004DB8: 80523D52
	v_mul_lo_u32 v6, v5, s82                                   // 000000004DBC: D2850006 0000A505
	v_readlane_b32 s82, v3, 1                                  // 000000004DC4: D2890052 00010303
	s_lshr_b32 s61, s82, 24                                    // 000000004DCC: 8F3D9852
	s_and_b32 s82, s82, 0xffffff                               // 000000004DD0: 8652FF52 00FFFFFF
	s_mul_i32 s82, s82, s71                                    // 000000004DD8: 92524752
	s_mul_i32 s61, s60, s61                                    // 000000004DDC: 923D3D3C
	s_add_u32 s82, s82, s61                                    // 000000004DE0: 80523D52
	v_mul_lo_u32 v7, v4, s82                                   // 000000004DE4: D2850007 0000A504
	v_add_u32_e32 v38, v6, v7                                  // 000000004DEC: 684C0F06
	v_readlane_b32 s82, v3, 2                                  // 000000004DF0: D2890052 00010503
	s_lshr_b32 s61, s82, 24                                    // 000000004DF8: 8F3D9852
	s_and_b32 s82, s82, 0xffffff                               // 000000004DFC: 8652FF52 00FFFFFF
	s_mul_i32 s82, s82, s71                                    // 000000004E04: 92524752
	s_mul_i32 s61, s60, s61                                    // 000000004E08: 923D3D3C
	s_add_u32 s82, s82, s61                                    // 000000004E0C: 80523D52
	v_mul_lo_u32 v6, v5, s82                                   // 000000004E10: D2850006 0000A505
	v_readlane_b32 s82, v3, 3                                  // 000000004E18: D2890052 00010703
	s_lshr_b32 s61, s82, 24                                    // 000000004E20: 8F3D9852
	s_and_b32 s82, s82, 0xffffff                               // 000000004E24: 8652FF52 00FFFFFF
	s_mul_i32 s82, s82, s71                                    // 000000004E2C: 92524752
	s_mul_i32 s61, s60, s61                                    // 000000004E30: 923D3D3C
	s_add_u32 s82, s82, s61                                    // 000000004E34: 80523D52
	v_mul_lo_u32 v7, v4, s82                                   // 000000004E38: D2850007 0000A504
	v_add_u32_e32 v39, v6, v7                                  // 000000004E40: 684E0F06
	v_readlane_b32 s82, v3, 4                                  // 000000004E44: D2890052 00010903
	s_lshr_b32 s61, s82, 24                                    // 000000004E4C: 8F3D9852
	s_and_b32 s82, s82, 0xffffff                               // 000000004E50: 8652FF52 00FFFFFF
	s_mul_i32 s82, s82, s71                                    // 000000004E58: 92524752
	s_mul_i32 s61, s60, s61                                    // 000000004E5C: 923D3D3C
	s_add_u32 s82, s82, s61                                    // 000000004E60: 80523D52
	v_mul_lo_u32 v6, v5, s82                                   // 000000004E64: D2850006 0000A505
	v_readlane_b32 s82, v3, 5                                  // 000000004E6C: D2890052 00010B03
	s_lshr_b32 s61, s82, 24                                    // 000000004E74: 8F3D9852
	s_and_b32 s82, s82, 0xffffff                               // 000000004E78: 8652FF52 00FFFFFF
	s_mul_i32 s82, s82, s71                                    // 000000004E80: 92524752
	s_mul_i32 s61, s60, s61                                    // 000000004E84: 923D3D3C
	s_add_u32 s82, s82, s61                                    // 000000004E88: 80523D52
	v_mul_lo_u32 v7, v4, s82                                   // 000000004E8C: D2850007 0000A504
	v_add_u32_e32 v40, v6, v7                                  // 000000004E94: 68500F06
	v_readlane_b32 s82, v3, 6                                  // 000000004E98: D2890052 00010D03
	s_lshr_b32 s61, s82, 24                                    // 000000004EA0: 8F3D9852
	s_and_b32 s82, s82, 0xffffff                               // 000000004EA4: 8652FF52 00FFFFFF
	s_mul_i32 s82, s82, s71                                    // 000000004EAC: 92524752
	s_mul_i32 s61, s60, s61                                    // 000000004EB0: 923D3D3C
	s_add_u32 s82, s82, s61                                    // 000000004EB4: 80523D52
	v_mul_lo_u32 v6, v5, s82                                   // 000000004EB8: D2850006 0000A505
	v_readlane_b32 s82, v3, 7                                  // 000000004EC0: D2890052 00010F03
	s_lshr_b32 s61, s82, 24                                    // 000000004EC8: 8F3D9852
	s_and_b32 s82, s82, 0xffffff                               // 000000004ECC: 8652FF52 00FFFFFF
	s_mul_i32 s82, s82, s71                                    // 000000004ED4: 92524752
	s_mul_i32 s61, s60, s61                                    // 000000004ED8: 923D3D3C
	s_add_u32 s82, s82, s61                                    // 000000004EDC: 80523D52
	v_mul_lo_u32 v7, v4, s82                                   // 000000004EE0: D2850007 0000A504
	v_add_u32_e32 v41, v6, v7                                  // 000000004EE8: 68520F06
	v_and_b32_e32 v4, 31, v0                                   // 000000004EEC: 2608009F
	v_lshrrev_b32_e32 v4, 1, v4                                // 000000004EF0: 20080881
	s_cmp_eq_u32 s88, 0                                        // 000000004EF4: BF068058
	s_cselect_b32 s61, 2, 4                                    // 000000004EF8: 853D8482
	v_mul_lo_u32 v4, v4, s61                                   // 000000004EFC: D2850004 00007B04
	v_and_b32_e64 v5, v0, 1                                    // 000000004F04: D1130005 00010300
	v_add_u32_e32 v4, v4, v5                                   // 000000004F0C: 68080B04
	v_lshlrev_b32_e32 v4, 2, v4                                // 000000004F10: 24080882
	v_add_u32_e32 v38, v38, v4                                 // 000000004F14: 684C0926
	v_add_u32_e32 v39, v39, v4                                 // 000000004F18: 684E0927
	v_add_u32_e32 v40, v40, v4                                 // 000000004F1C: 68500928
	v_add_u32_e32 v41, v41, v4                                 // 000000004F20: 68520929
	s_waitcnt lgkmcnt(0)                                       // 000000004F24: BF8CC07F
	s_barrier                                                  // 000000004F28: BF8A0000
	ds_read_b32 v44, v21                                       // 000000004F2C: D86C0000 2C000015
	ds_read_b32 v45, v21 offset:64                             // 000000004F34: D86C0040 2D000015
	ds_read_b32 v46, v21 offset:2176                           // 000000004F3C: D86C0880 2E000015
	ds_read_b32 v47, v21 offset:2240                           // 000000004F44: D86C08C0 2F000015
	s_waitcnt lgkmcnt(0)                                       // 000000004F4C: BF8CC07F
	s_mov_b32 s36, -1                                          // 000000004F50: BEA400C1
	s_mov_b32 s37, -1                                          // 000000004F54: BEA500C1
	v_mov_b32_e32 v7, 0                                        // 000000004F58: 7E0E0280
	s_or_b32 s9, s9, 0x40000                                   // 000000004F5C: 8709FF09 00040000
	s_mov_b64 exec, s[36:37]                                   // 000000004F64: BEFE0124
	v_mov_b32_e32 v6, v38                                      // 000000004F68: 7E0C0326
	s_mov_b64 s[60:61], 0                                      // 000000004F6C: BEBC0180
	v_readlane_b32 s82, v3, 0                                  // 000000004F70: D2890052 00010103
	s_and_b32 s82, s82, 0xffffff                               // 000000004F78: 8652FF52 00FFFFFF
	s_cmp_lt_u32 s82, s66                                      // 000000004F80: BF0A4252
	s_cselect_b32 s20, s36, s60                                // 000000004F84: 85143C24
	v_readlane_b32 s82, v3, 1                                  // 000000004F88: D2890052 00010303
	s_and_b32 s82, s82, 0xffffff                               // 000000004F90: 8652FF52 00FFFFFF
	s_cmp_lt_u32 s82, s66                                      // 000000004F98: BF0A4252
	s_cselect_b32 s21, s36, s60                                // 000000004F9C: 85153C24
	s_mov_b64 exec, s[20:21]                                   // 000000004FA0: BEFE0114
	buffer_store_dword v44, v6, s[8:11], 0 offen               // 000000004FA4: E0701000 80022C06
	s_mov_b64 exec, s[36:37]                                   // 000000004FAC: BEFE0124
	v_mov_b32_e32 v6, v39                                      // 000000004FB0: 7E0C0327
	s_mov_b64 s[60:61], 0                                      // 000000004FB4: BEBC0180
	v_readlane_b32 s82, v3, 2                                  // 000000004FB8: D2890052 00010503
	s_and_b32 s82, s82, 0xffffff                               // 000000004FC0: 8652FF52 00FFFFFF
	s_cmp_lt_u32 s82, s66                                      // 000000004FC8: BF0A4252
	s_cselect_b32 s20, s36, s60                                // 000000004FCC: 85143C24
	v_readlane_b32 s82, v3, 3                                  // 000000004FD0: D2890052 00010703
	s_and_b32 s82, s82, 0xffffff                               // 000000004FD8: 8652FF52 00FFFFFF
	s_cmp_lt_u32 s82, s66                                      // 000000004FE0: BF0A4252
	s_cselect_b32 s21, s36, s60                                // 000000004FE4: 85153C24
	s_mov_b64 exec, s[20:21]                                   // 000000004FE8: BEFE0114
	buffer_store_dword v45, v6, s[8:11], 0 offen               // 000000004FEC: E0701000 80022D06
	s_mov_b64 exec, s[36:37]                                   // 000000004FF4: BEFE0124
	v_mov_b32_e32 v6, v40                                      // 000000004FF8: 7E0C0328
	s_mov_b64 s[60:61], 0                                      // 000000004FFC: BEBC0180
	v_readlane_b32 s82, v3, 4                                  // 000000005000: D2890052 00010903
	s_and_b32 s82, s82, 0xffffff                               // 000000005008: 8652FF52 00FFFFFF
	s_cmp_lt_u32 s82, s66                                      // 000000005010: BF0A4252
	s_cselect_b32 s20, s36, s60                                // 000000005014: 85143C24
	v_readlane_b32 s82, v3, 5                                  // 000000005018: D2890052 00010B03
	s_and_b32 s82, s82, 0xffffff                               // 000000005020: 8652FF52 00FFFFFF
	s_cmp_lt_u32 s82, s66                                      // 000000005028: BF0A4252
	s_cselect_b32 s21, s36, s60                                // 00000000502C: 85153C24
	s_mov_b64 exec, s[20:21]                                   // 000000005030: BEFE0114
	buffer_store_dword v46, v6, s[8:11], 0 offen               // 000000005034: E0701000 80022E06
	s_mov_b64 exec, s[36:37]                                   // 00000000503C: BEFE0124
	v_mov_b32_e32 v6, v41                                      // 000000005040: 7E0C0329
	s_mov_b64 s[60:61], 0                                      // 000000005044: BEBC0180
	v_readlane_b32 s82, v3, 6                                  // 000000005048: D2890052 00010D03
	s_and_b32 s82, s82, 0xffffff                               // 000000005050: 8652FF52 00FFFFFF
	s_cmp_lt_u32 s82, s66                                      // 000000005058: BF0A4252
	s_cselect_b32 s20, s36, s60                                // 00000000505C: 85143C24
	v_readlane_b32 s82, v3, 7                                  // 000000005060: D2890052 00010F03
	s_and_b32 s82, s82, 0xffffff                               // 000000005068: 8652FF52 00FFFFFF
	s_cmp_lt_u32 s82, s66                                      // 000000005070: BF0A4252
	s_cselect_b32 s21, s36, s60                                // 000000005074: 85153C24
	s_mov_b64 exec, s[20:21]                                   // 000000005078: BEFE0114
	buffer_store_dword v47, v6, s[8:11], 0 offen               // 00000000507C: E0701000 80022F06
	s_mov_b64 exec, s[36:37]                                   // 000000005084: BEFE0124
	s_cmp_eq_u32 s7, 0                                         // 000000005088: BF068007
	s_cbranch_scc0 label_15F6                                  // 00000000508C: BF840C4F
	s_waitcnt vmcnt(4)                                         // 000000005090: BF8C0F74
	s_mov_b32 s8, s90                                          // 000000005094: BE88005A
	s_mov_b32 s9, s91                                          // 000000005098: BE89005B
	s_mul_i32 s60, s66, s71                                    // 00000000509C: 923C4742
	s_add_u32 s8, s60, s8                                      // 0000000050A0: 8008083C
	s_addc_u32 s9, 0, s9                                       // 0000000050A4: 82090980
	s_lshr_b32 s71, s71, 5                                     // 0000000050A8: 8F478547
	s_mul_i32 s60, s66, s71                                    // 0000000050AC: 923C4742
	s_mov_b32 s10, s60                                         // 0000000050B0: BE8A003C
	s_lshr_b32 s61, s65, 5                                     // 0000000050B4: 8F3D8541
	s_mul_i32 s60, s2, 4                                       // 0000000050B8: 923C8402
	v_lshrrev_b32_e32 v4, 24, v30                              // 0000000050BC: 20083C98
	v_mul_lo_u32 v4, s61, v4                                   // 0000000050C0: D2850004 0002083D
	v_and_b32_e32 v30, 0xffffff, v30                           // 0000000050C8: 263C3CFF 00FFFFFF
	v_mul_lo_u32 v30, s71, v30                                 // 0000000050D0: D285001E 00023C47
	v_add_u32_e32 v30, v4, v30                                 // 0000000050D8: 683C3D04
	v_add_u32_e32 v30, s60, v30                                // 0000000050DC: 683C3C3C
	v_lshrrev_b32_e32 v4, 24, v31                              // 0000000050E0: 20083E98
	v_mul_lo_u32 v4, s61, v4                                   // 0000000050E4: D2850004 0002083D
	v_and_b32_e32 v31, 0xffffff, v31                           // 0000000050EC: 263E3EFF 00FFFFFF
	v_mul_lo_u32 v31, s71, v31                                 // 0000000050F4: D285001F 00023E47
	v_add_u32_e32 v31, v4, v31                                 // 0000000050FC: 683E3F04
	v_add_u32_e32 v31, s60, v31                                // 000000005100: 683E3E3C
	s_mov_b64 exec, 0xffff                                     // 000000005104: BEFE01FF 0000FFFF
	buffer_store_dword v60, v30, s[8:11], 0 offen              // 00000000510C: E0701000 80023C1E
	buffer_store_dword v61, v31, s[8:11], 0 offen              // 000000005114: E0701000 80023D1F
	s_mov_b64 exec, s[36:37]                                   // 00000000511C: BEFE0124
	s_branch label_15F6                                        // 000000005120: BF820C2A

0000000000005124 <label_09C9>:
	ds_write_b64 v20, v[44:45]                                 // 000000005124: D89A0000 00002C14
	ds_write_b64 v20, v[48:49] offset:4352                     // 00000000512C: D89A1100 00003014
	ds_write_b64 v20, v[52:53] offset:2176                     // 000000005134: D89A0880 00003414
	ds_write_b64 v20, v[56:57] offset:6528                     // 00000000513C: D89A1980 00003814
	v_lshrrev_b32_e32 v4, 5, v0                                // 000000005144: 20080085
	v_xor_b32_e32 v5, 1, v4                                    // 000000005148: 2A0A0881
	s_mul_i32 s60, s65, 1                                      // 00000000514C: 923C8141
	s_cmp_eq_u32 s88, 0                                        // 000000005150: BF068058
	s_cselect_b32 s61, 1, 8                                    // 000000005154: 853D8881
	s_mul_i32 s60, s61, s60                                    // 000000005158: 923C3C3D
	v_readlane_b32 s82, v3, 0                                  // 00000000515C: D2890052 00010103
	s_lshr_b32 s61, s82, 24                                    // 000000005164: 8F3D9852
	s_and_b32 s82, s82, 0xffffff                               // 000000005168: 8652FF52 00FFFFFF
	s_mul_i32 s82, s82, s71                                    // 000000005170: 92524752
	s_mul_i32 s61, s60, s61                                    // 000000005174: 923D3D3C
	s_add_u32 s82, s82, s61                                    // 000000005178: 80523D52
	v_mul_lo_u32 v6, v5, s82                                   // 00000000517C: D2850006 0000A505
	v_readlane_b32 s82, v3, 1                                  // 000000005184: D2890052 00010303
	s_lshr_b32 s61, s82, 24                                    // 00000000518C: 8F3D9852
	s_and_b32 s82, s82, 0xffffff                               // 000000005190: 8652FF52 00FFFFFF
	s_mul_i32 s82, s82, s71                                    // 000000005198: 92524752
	s_mul_i32 s61, s60, s61                                    // 00000000519C: 923D3D3C
	s_add_u32 s82, s82, s61                                    // 0000000051A0: 80523D52
	v_mul_lo_u32 v7, v4, s82                                   // 0000000051A4: D2850007 0000A504
	v_add_u32_e32 v38, v6, v7                                  // 0000000051AC: 684C0F06
	v_readlane_b32 s82, v3, 2                                  // 0000000051B0: D2890052 00010503
	s_lshr_b32 s61, s82, 24                                    // 0000000051B8: 8F3D9852
	s_and_b32 s82, s82, 0xffffff                               // 0000000051BC: 8652FF52 00FFFFFF
	s_mul_i32 s82, s82, s71                                    // 0000000051C4: 92524752
	s_mul_i32 s61, s60, s61                                    // 0000000051C8: 923D3D3C
	s_add_u32 s82, s82, s61                                    // 0000000051CC: 80523D52
	v_mul_lo_u32 v6, v5, s82                                   // 0000000051D0: D2850006 0000A505
	v_readlane_b32 s82, v3, 3                                  // 0000000051D8: D2890052 00010703
	s_lshr_b32 s61, s82, 24                                    // 0000000051E0: 8F3D9852
	s_and_b32 s82, s82, 0xffffff                               // 0000000051E4: 8652FF52 00FFFFFF
	s_mul_i32 s82, s82, s71                                    // 0000000051EC: 92524752
	s_mul_i32 s61, s60, s61                                    // 0000000051F0: 923D3D3C
	s_add_u32 s82, s82, s61                                    // 0000000051F4: 80523D52
	v_mul_lo_u32 v7, v4, s82                                   // 0000000051F8: D2850007 0000A504
	v_add_u32_e32 v39, v6, v7                                  // 000000005200: 684E0F06
	v_readlane_b32 s82, v3, 4                                  // 000000005204: D2890052 00010903
	s_lshr_b32 s61, s82, 24                                    // 00000000520C: 8F3D9852
	s_and_b32 s82, s82, 0xffffff                               // 000000005210: 8652FF52 00FFFFFF
	s_mul_i32 s82, s82, s71                                    // 000000005218: 92524752
	s_mul_i32 s61, s60, s61                                    // 00000000521C: 923D3D3C
	s_add_u32 s82, s82, s61                                    // 000000005220: 80523D52
	v_mul_lo_u32 v6, v5, s82                                   // 000000005224: D2850006 0000A505
	v_readlane_b32 s82, v3, 5                                  // 00000000522C: D2890052 00010B03
	s_lshr_b32 s61, s82, 24                                    // 000000005234: 8F3D9852
	s_and_b32 s82, s82, 0xffffff                               // 000000005238: 8652FF52 00FFFFFF
	s_mul_i32 s82, s82, s71                                    // 000000005240: 92524752
	s_mul_i32 s61, s60, s61                                    // 000000005244: 923D3D3C
	s_add_u32 s82, s82, s61                                    // 000000005248: 80523D52
	v_mul_lo_u32 v7, v4, s82                                   // 00000000524C: D2850007 0000A504
	v_add_u32_e32 v40, v6, v7                                  // 000000005254: 68500F06
	v_readlane_b32 s82, v3, 6                                  // 000000005258: D2890052 00010D03
	s_lshr_b32 s61, s82, 24                                    // 000000005260: 8F3D9852
	s_and_b32 s82, s82, 0xffffff                               // 000000005264: 8652FF52 00FFFFFF
	s_mul_i32 s82, s82, s71                                    // 00000000526C: 92524752
	s_mul_i32 s61, s60, s61                                    // 000000005270: 923D3D3C
	s_add_u32 s82, s82, s61                                    // 000000005274: 80523D52
	v_mul_lo_u32 v6, v5, s82                                   // 000000005278: D2850006 0000A505
	v_readlane_b32 s82, v3, 7                                  // 000000005280: D2890052 00010F03
	s_lshr_b32 s61, s82, 24                                    // 000000005288: 8F3D9852
	s_and_b32 s82, s82, 0xffffff                               // 00000000528C: 8652FF52 00FFFFFF
	s_mul_i32 s82, s82, s71                                    // 000000005294: 92524752
	s_mul_i32 s61, s60, s61                                    // 000000005298: 923D3D3C
	s_add_u32 s82, s82, s61                                    // 00000000529C: 80523D52
	v_mul_lo_u32 v7, v4, s82                                   // 0000000052A0: D2850007 0000A504
	v_add_u32_e32 v41, v6, v7                                  // 0000000052A8: 68520F06
	v_and_b32_e32 v4, 31, v0                                   // 0000000052AC: 2608009F
	v_lshrrev_b32_e32 v4, 1, v4                                // 0000000052B0: 20080881
	s_cmp_eq_u32 s88, 0                                        // 0000000052B4: BF068058
	s_cselect_b32 s61, 2, 4                                    // 0000000052B8: 853D8482
	v_mul_lo_u32 v4, v4, s61                                   // 0000000052BC: D2850004 00007B04
	v_and_b32_e64 v5, v0, 1                                    // 0000000052C4: D1130005 00010300
	v_add_u32_e32 v4, v4, v5                                   // 0000000052CC: 68080B04
	v_lshlrev_b32_e32 v4, 2, v4                                // 0000000052D0: 24080882
	v_add_u32_e32 v38, v38, v4                                 // 0000000052D4: 684C0926
	v_add_u32_e32 v39, v39, v4                                 // 0000000052D8: 684E0927
	v_add_u32_e32 v40, v40, v4                                 // 0000000052DC: 68500928
	v_add_u32_e32 v41, v41, v4                                 // 0000000052E0: 68520929
	s_waitcnt lgkmcnt(0)                                       // 0000000052E4: BF8CC07F
	s_barrier                                                  // 0000000052E8: BF8A0000
	ds_read_b32 v44, v21                                       // 0000000052EC: D86C0000 2C000015
	ds_read_b32 v45, v21 offset:64                             // 0000000052F4: D86C0040 2D000015
	ds_read_b32 v48, v21 offset:2176                           // 0000000052FC: D86C0880 30000015
	ds_read_b32 v49, v21 offset:2240                           // 000000005304: D86C08C0 31000015
	ds_read_b32 v52, v21 offset:4352                           // 00000000530C: D86C1100 34000015
	ds_read_b32 v53, v21 offset:4416                           // 000000005314: D86C1140 35000015
	ds_read_b32 v56, v21 offset:6528                           // 00000000531C: D86C1980 38000015
	ds_read_b32 v57, v21 offset:6592                           // 000000005324: D86C19C0 39000015
	s_waitcnt lgkmcnt(0)                                       // 00000000532C: BF8CC07F
	s_mov_b32 s36, -1                                          // 000000005330: BEA400C1
	s_mov_b32 s37, -1                                          // 000000005334: BEA500C1
	v_mov_b32_e32 v7, 0                                        // 000000005338: 7E0E0280
	s_mov_b64 exec, s[36:37]                                   // 00000000533C: BEFE0124
	v_mov_b32_e32 v6, v38                                      // 000000005340: 7E0C0326
	s_mov_b64 s[60:61], 0                                      // 000000005344: BEBC0180
	v_readlane_b32 s82, v3, 0                                  // 000000005348: D2890052 00010103
	s_and_b32 s82, s82, 0xffffff                               // 000000005350: 8652FF52 00FFFFFF
	s_cmp_lt_u32 s82, s66                                      // 000000005358: BF0A4252
	s_cselect_b32 s20, s36, s60                                // 00000000535C: 85143C24
	v_readlane_b32 s82, v3, 1                                  // 000000005360: D2890052 00010303
	s_and_b32 s82, s82, 0xffffff                               // 000000005368: 8652FF52 00FFFFFF
	s_cmp_lt_u32 s82, s66                                      // 000000005370: BF0A4252
	s_cselect_b32 s21, s36, s60                                // 000000005374: 85153C24
	s_mov_b64 exec, s[20:21]                                   // 000000005378: BEFE0114
	global_atomic_add_f32 v6, v44, s[8:9]                      // 00000000537C: DD348000 00082C06
	global_atomic_add_f32 v6, v48, s[8:9] offset:256           // 000000005384: DD348100 00083006
	s_mov_b64 exec, s[36:37]                                   // 00000000538C: BEFE0124
	v_mov_b32_e32 v6, v39                                      // 000000005390: 7E0C0327
	s_mov_b64 s[60:61], 0                                      // 000000005394: BEBC0180
	v_readlane_b32 s82, v3, 2                                  // 000000005398: D2890052 00010503
	s_and_b32 s82, s82, 0xffffff                               // 0000000053A0: 8652FF52 00FFFFFF
	s_cmp_lt_u32 s82, s66                                      // 0000000053A8: BF0A4252
	s_cselect_b32 s20, s36, s60                                // 0000000053AC: 85143C24
	v_readlane_b32 s82, v3, 3                                  // 0000000053B0: D2890052 00010703
	s_and_b32 s82, s82, 0xffffff                               // 0000000053B8: 8652FF52 00FFFFFF
	s_cmp_lt_u32 s82, s66                                      // 0000000053C0: BF0A4252
	s_cselect_b32 s21, s36, s60                                // 0000000053C4: 85153C24
	s_mov_b64 exec, s[20:21]                                   // 0000000053C8: BEFE0114
	global_atomic_add_f32 v6, v45, s[8:9]                      // 0000000053CC: DD348000 00082D06
	global_atomic_add_f32 v6, v49, s[8:9] offset:256           // 0000000053D4: DD348100 00083106
	s_mov_b64 exec, s[36:37]                                   // 0000000053DC: BEFE0124
	v_mov_b32_e32 v6, v40                                      // 0000000053E0: 7E0C0328
	s_mov_b64 s[60:61], 0                                      // 0000000053E4: BEBC0180
	v_readlane_b32 s82, v3, 4                                  // 0000000053E8: D2890052 00010903
	s_and_b32 s82, s82, 0xffffff                               // 0000000053F0: 8652FF52 00FFFFFF
	s_cmp_lt_u32 s82, s66                                      // 0000000053F8: BF0A4252
	s_cselect_b32 s20, s36, s60                                // 0000000053FC: 85143C24
	v_readlane_b32 s82, v3, 5                                  // 000000005400: D2890052 00010B03
	s_and_b32 s82, s82, 0xffffff                               // 000000005408: 8652FF52 00FFFFFF
	s_cmp_lt_u32 s82, s66                                      // 000000005410: BF0A4252
	s_cselect_b32 s21, s36, s60                                // 000000005414: 85153C24
	s_mov_b64 exec, s[20:21]                                   // 000000005418: BEFE0114
	global_atomic_add_f32 v6, v52, s[8:9]                      // 00000000541C: DD348000 00083406
	global_atomic_add_f32 v6, v56, s[8:9] offset:256           // 000000005424: DD348100 00083806
	s_mov_b64 exec, s[36:37]                                   // 00000000542C: BEFE0124
	v_mov_b32_e32 v6, v41                                      // 000000005430: 7E0C0329
	s_mov_b64 s[60:61], 0                                      // 000000005434: BEBC0180
	v_readlane_b32 s82, v3, 6                                  // 000000005438: D2890052 00010D03
	s_and_b32 s82, s82, 0xffffff                               // 000000005440: 8652FF52 00FFFFFF
	s_cmp_lt_u32 s82, s66                                      // 000000005448: BF0A4252
	s_cselect_b32 s20, s36, s60                                // 00000000544C: 85143C24
	v_readlane_b32 s82, v3, 7                                  // 000000005450: D2890052 00010F03
	s_and_b32 s82, s82, 0xffffff                               // 000000005458: 8652FF52 00FFFFFF
	s_cmp_lt_u32 s82, s66                                      // 000000005460: BF0A4252
	s_cselect_b32 s21, s36, s60                                // 000000005464: 85153C24
	s_mov_b64 exec, s[20:21]                                   // 000000005468: BEFE0114
	global_atomic_add_f32 v6, v53, s[8:9]                      // 00000000546C: DD348000 00083506
	global_atomic_add_f32 v6, v57, s[8:9] offset:256           // 000000005474: DD348100 00083906
	s_mov_b64 exec, s[36:37]                                   // 00000000547C: BEFE0124
	ds_write_b64 v20, v[46:47]                                 // 000000005480: D89A0000 00002E14
	ds_write_b64 v20, v[50:51] offset:4352                     // 000000005488: D89A1100 00003214
	ds_write_b64 v20, v[54:55] offset:2176                     // 000000005490: D89A0880 00003614
	ds_write_b64 v20, v[58:59] offset:6528                     // 000000005498: D89A1980 00003A14
	s_waitcnt lgkmcnt(0)                                       // 0000000054A0: BF8CC07F
	s_barrier                                                  // 0000000054A4: BF8A0000
	ds_read_b32 v46, v21                                       // 0000000054A8: D86C0000 2E000015
	ds_read_b32 v47, v21 offset:64                             // 0000000054B0: D86C0040 2F000015
	ds_read_b32 v50, v21 offset:2176                           // 0000000054B8: D86C0880 32000015
	ds_read_b32 v51, v21 offset:2240                           // 0000000054C0: D86C08C0 33000015
	ds_read_b32 v54, v21 offset:4352                           // 0000000054C8: D86C1100 36000015
	ds_read_b32 v55, v21 offset:4416                           // 0000000054D0: D86C1140 37000015
	ds_read_b32 v58, v21 offset:6528                           // 0000000054D8: D86C1980 3A000015
	ds_read_b32 v59, v21 offset:6592                           // 0000000054E0: D86C19C0 3B000015
	s_waitcnt lgkmcnt(0)                                       // 0000000054E8: BF8CC07F
	v_mov_b32_e32 v7, 0                                        // 0000000054EC: 7E0E0280
	s_mov_b64 exec, s[36:37]                                   // 0000000054F0: BEFE0124
	v_mov_b32_e32 v6, v38                                      // 0000000054F4: 7E0C0326
	s_mov_b64 s[60:61], 0                                      // 0000000054F8: BEBC0180
	v_readlane_b32 s82, v3, 0                                  // 0000000054FC: D2890052 00010103
	s_and_b32 s82, s82, 0xffffff                               // 000000005504: 8652FF52 00FFFFFF
	s_cmp_lt_u32 s82, s66                                      // 00000000550C: BF0A4252
	s_cselect_b32 s20, s36, s60                                // 000000005510: 85143C24
	v_readlane_b32 s82, v3, 1                                  // 000000005514: D2890052 00010303
	s_and_b32 s82, s82, 0xffffff                               // 00000000551C: 8652FF52 00FFFFFF
	s_cmp_lt_u32 s82, s66                                      // 000000005524: BF0A4252
	s_cselect_b32 s21, s36, s60                                // 000000005528: 85153C24
	s_mov_b64 exec, s[20:21]                                   // 00000000552C: BEFE0114
	global_atomic_add_f32 v6, v46, s[8:9] offset:8             // 000000005530: DD348008 00082E06
	global_atomic_add_f32 v6, v50, s[8:9] offset:264           // 000000005538: DD348108 00083206
	s_mov_b64 exec, s[36:37]                                   // 000000005540: BEFE0124
	v_mov_b32_e32 v6, v39                                      // 000000005544: 7E0C0327
	s_mov_b64 s[60:61], 0                                      // 000000005548: BEBC0180
	v_readlane_b32 s82, v3, 2                                  // 00000000554C: D2890052 00010503
	s_and_b32 s82, s82, 0xffffff                               // 000000005554: 8652FF52 00FFFFFF
	s_cmp_lt_u32 s82, s66                                      // 00000000555C: BF0A4252
	s_cselect_b32 s20, s36, s60                                // 000000005560: 85143C24
	v_readlane_b32 s82, v3, 3                                  // 000000005564: D2890052 00010703
	s_and_b32 s82, s82, 0xffffff                               // 00000000556C: 8652FF52 00FFFFFF
	s_cmp_lt_u32 s82, s66                                      // 000000005574: BF0A4252
	s_cselect_b32 s21, s36, s60                                // 000000005578: 85153C24
	s_mov_b64 exec, s[20:21]                                   // 00000000557C: BEFE0114
	global_atomic_add_f32 v6, v47, s[8:9] offset:8             // 000000005580: DD348008 00082F06
	global_atomic_add_f32 v6, v51, s[8:9] offset:264           // 000000005588: DD348108 00083306
	s_mov_b64 exec, s[36:37]                                   // 000000005590: BEFE0124
	v_mov_b32_e32 v6, v40                                      // 000000005594: 7E0C0328
	s_mov_b64 s[60:61], 0                                      // 000000005598: BEBC0180
	v_readlane_b32 s82, v3, 4                                  // 00000000559C: D2890052 00010903
	s_and_b32 s82, s82, 0xffffff                               // 0000000055A4: 8652FF52 00FFFFFF
	s_cmp_lt_u32 s82, s66                                      // 0000000055AC: BF0A4252
	s_cselect_b32 s20, s36, s60                                // 0000000055B0: 85143C24
	v_readlane_b32 s82, v3, 5                                  // 0000000055B4: D2890052 00010B03
	s_and_b32 s82, s82, 0xffffff                               // 0000000055BC: 8652FF52 00FFFFFF
	s_cmp_lt_u32 s82, s66                                      // 0000000055C4: BF0A4252
	s_cselect_b32 s21, s36, s60                                // 0000000055C8: 85153C24
	s_mov_b64 exec, s[20:21]                                   // 0000000055CC: BEFE0114
	global_atomic_add_f32 v6, v54, s[8:9] offset:8             // 0000000055D0: DD348008 00083606
	global_atomic_add_f32 v6, v58, s[8:9] offset:264           // 0000000055D8: DD348108 00083A06
	s_mov_b64 exec, s[36:37]                                   // 0000000055E0: BEFE0124
	v_mov_b32_e32 v6, v41                                      // 0000000055E4: 7E0C0329
	s_mov_b64 s[60:61], 0                                      // 0000000055E8: BEBC0180
	v_readlane_b32 s82, v3, 6                                  // 0000000055EC: D2890052 00010D03
	s_and_b32 s82, s82, 0xffffff                               // 0000000055F4: 8652FF52 00FFFFFF
	s_cmp_lt_u32 s82, s66                                      // 0000000055FC: BF0A4252
	s_cselect_b32 s20, s36, s60                                // 000000005600: 85143C24
	v_readlane_b32 s82, v3, 7                                  // 000000005604: D2890052 00010F03
	s_and_b32 s82, s82, 0xffffff                               // 00000000560C: 8652FF52 00FFFFFF
	s_cmp_lt_u32 s82, s66                                      // 000000005614: BF0A4252
	s_cselect_b32 s21, s36, s60                                // 000000005618: 85153C24
	s_mov_b64 exec, s[20:21]                                   // 00000000561C: BEFE0114
	global_atomic_add_f32 v6, v55, s[8:9] offset:8             // 000000005620: DD348008 00083706
	global_atomic_add_f32 v6, v59, s[8:9] offset:264           // 000000005628: DD348108 00083B06
	s_mov_b64 exec, s[36:37]                                   // 000000005630: BEFE0124
	ds_write_b64 v20, v[60:61]                                 // 000000005634: D89A0000 00003C14
	ds_write_b64 v20, v[64:65] offset:4352                     // 00000000563C: D89A1100 00004014
	ds_write_b64 v20, v[68:69] offset:2176                     // 000000005644: D89A0880 00004414
	ds_write_b64 v20, v[72:73] offset:6528                     // 00000000564C: D89A1980 00004814
	s_waitcnt lgkmcnt(0)                                       // 000000005654: BF8CC07F
	s_barrier                                                  // 000000005658: BF8A0000
	ds_read_b32 v60, v21                                       // 00000000565C: D86C0000 3C000015
	ds_read_b32 v61, v21 offset:64                             // 000000005664: D86C0040 3D000015
	ds_read_b32 v64, v21 offset:2176                           // 00000000566C: D86C0880 40000015
	ds_read_b32 v65, v21 offset:2240                           // 000000005674: D86C08C0 41000015
	ds_read_b32 v68, v21 offset:4352                           // 00000000567C: D86C1100 44000015
	ds_read_b32 v69, v21 offset:4416                           // 000000005684: D86C1140 45000015
	ds_read_b32 v72, v21 offset:6528                           // 00000000568C: D86C1980 48000015
	ds_read_b32 v73, v21 offset:6592                           // 000000005694: D86C19C0 49000015
	s_mul_i32 s60, s65, 4                                      // 00000000569C: 923C8441
	s_add_u32 s8, s60, s8                                      // 0000000056A0: 8008083C
	s_addc_u32 s9, 0, s9                                       // 0000000056A4: 82090980
	s_waitcnt lgkmcnt(0)                                       // 0000000056A8: BF8CC07F
	v_mov_b32_e32 v7, 0                                        // 0000000056AC: 7E0E0280
	s_mov_b64 exec, s[36:37]                                   // 0000000056B0: BEFE0124
	v_mov_b32_e32 v6, v38                                      // 0000000056B4: 7E0C0326
	s_mov_b64 s[60:61], 0                                      // 0000000056B8: BEBC0180
	v_readlane_b32 s82, v3, 0                                  // 0000000056BC: D2890052 00010103
	s_and_b32 s82, s82, 0xffffff                               // 0000000056C4: 8652FF52 00FFFFFF
	s_cmp_lt_u32 s82, s66                                      // 0000000056CC: BF0A4252
	s_cselect_b32 s20, s36, s60                                // 0000000056D0: 85143C24
	v_readlane_b32 s82, v3, 1                                  // 0000000056D4: D2890052 00010303
	s_and_b32 s82, s82, 0xffffff                               // 0000000056DC: 8652FF52 00FFFFFF
	s_cmp_lt_u32 s82, s66                                      // 0000000056E4: BF0A4252
	s_cselect_b32 s21, s36, s60                                // 0000000056E8: 85153C24
	s_mov_b64 exec, s[20:21]                                   // 0000000056EC: BEFE0114
	global_atomic_add_f32 v6, v60, s[8:9]                      // 0000000056F0: DD348000 00083C06
	global_atomic_add_f32 v6, v64, s[8:9] offset:256           // 0000000056F8: DD348100 00084006
	s_mov_b64 exec, s[36:37]                                   // 000000005700: BEFE0124
	v_mov_b32_e32 v6, v39                                      // 000000005704: 7E0C0327
	s_mov_b64 s[60:61], 0                                      // 000000005708: BEBC0180
	v_readlane_b32 s82, v3, 2                                  // 00000000570C: D2890052 00010503
	s_and_b32 s82, s82, 0xffffff                               // 000000005714: 8652FF52 00FFFFFF
	s_cmp_lt_u32 s82, s66                                      // 00000000571C: BF0A4252
	s_cselect_b32 s20, s36, s60                                // 000000005720: 85143C24
	v_readlane_b32 s82, v3, 3                                  // 000000005724: D2890052 00010703
	s_and_b32 s82, s82, 0xffffff                               // 00000000572C: 8652FF52 00FFFFFF
	s_cmp_lt_u32 s82, s66                                      // 000000005734: BF0A4252
	s_cselect_b32 s21, s36, s60                                // 000000005738: 85153C24
	s_mov_b64 exec, s[20:21]                                   // 00000000573C: BEFE0114
	global_atomic_add_f32 v6, v61, s[8:9]                      // 000000005740: DD348000 00083D06
	global_atomic_add_f32 v6, v65, s[8:9] offset:256           // 000000005748: DD348100 00084106
	s_mov_b64 exec, s[36:37]                                   // 000000005750: BEFE0124
	v_mov_b32_e32 v6, v40                                      // 000000005754: 7E0C0328
	s_mov_b64 s[60:61], 0                                      // 000000005758: BEBC0180
	v_readlane_b32 s82, v3, 4                                  // 00000000575C: D2890052 00010903
	s_and_b32 s82, s82, 0xffffff                               // 000000005764: 8652FF52 00FFFFFF
	s_cmp_lt_u32 s82, s66                                      // 00000000576C: BF0A4252
	s_cselect_b32 s20, s36, s60                                // 000000005770: 85143C24
	v_readlane_b32 s82, v3, 5                                  // 000000005774: D2890052 00010B03
	s_and_b32 s82, s82, 0xffffff                               // 00000000577C: 8652FF52 00FFFFFF
	s_cmp_lt_u32 s82, s66                                      // 000000005784: BF0A4252
	s_cselect_b32 s21, s36, s60                                // 000000005788: 85153C24
	s_mov_b64 exec, s[20:21]                                   // 00000000578C: BEFE0114
	global_atomic_add_f32 v6, v68, s[8:9]                      // 000000005790: DD348000 00084406
	global_atomic_add_f32 v6, v72, s[8:9] offset:256           // 000000005798: DD348100 00084806
	s_mov_b64 exec, s[36:37]                                   // 0000000057A0: BEFE0124
	v_mov_b32_e32 v6, v41                                      // 0000000057A4: 7E0C0329
	s_mov_b64 s[60:61], 0                                      // 0000000057A8: BEBC0180
	v_readlane_b32 s82, v3, 6                                  // 0000000057AC: D2890052 00010D03
	s_and_b32 s82, s82, 0xffffff                               // 0000000057B4: 8652FF52 00FFFFFF
	s_cmp_lt_u32 s82, s66                                      // 0000000057BC: BF0A4252
	s_cselect_b32 s20, s36, s60                                // 0000000057C0: 85143C24
	v_readlane_b32 s82, v3, 7                                  // 0000000057C4: D2890052 00010F03
	s_and_b32 s82, s82, 0xffffff                               // 0000000057CC: 8652FF52 00FFFFFF
	s_cmp_lt_u32 s82, s66                                      // 0000000057D4: BF0A4252
	s_cselect_b32 s21, s36, s60                                // 0000000057D8: 85153C24
	s_mov_b64 exec, s[20:21]                                   // 0000000057DC: BEFE0114
	global_atomic_add_f32 v6, v69, s[8:9]                      // 0000000057E0: DD348000 00084506
	global_atomic_add_f32 v6, v73, s[8:9] offset:256           // 0000000057E8: DD348100 00084906
	s_mov_b64 exec, s[36:37]                                   // 0000000057F0: BEFE0124
	ds_write_b64 v20, v[62:63]                                 // 0000000057F4: D89A0000 00003E14
	ds_write_b64 v20, v[66:67] offset:4352                     // 0000000057FC: D89A1100 00004214
	ds_write_b64 v20, v[70:71] offset:2176                     // 000000005804: D89A0880 00004614
	ds_write_b64 v20, v[74:75] offset:6528                     // 00000000580C: D89A1980 00004A14
	s_waitcnt lgkmcnt(0)                                       // 000000005814: BF8CC07F
	s_barrier                                                  // 000000005818: BF8A0000
	ds_read_b32 v62, v21                                       // 00000000581C: D86C0000 3E000015
	ds_read_b32 v63, v21 offset:64                             // 000000005824: D86C0040 3F000015
	ds_read_b32 v66, v21 offset:2176                           // 00000000582C: D86C0880 42000015
	ds_read_b32 v67, v21 offset:2240                           // 000000005834: D86C08C0 43000015
	ds_read_b32 v70, v21 offset:4352                           // 00000000583C: D86C1100 46000015
	ds_read_b32 v71, v21 offset:4416                           // 000000005844: D86C1140 47000015
	ds_read_b32 v74, v21 offset:6528                           // 00000000584C: D86C1980 4A000015
	ds_read_b32 v75, v21 offset:6592                           // 000000005854: D86C19C0 4B000015
	s_waitcnt lgkmcnt(0)                                       // 00000000585C: BF8CC07F
	v_mov_b32_e32 v7, 0                                        // 000000005860: 7E0E0280
	s_mov_b64 exec, s[36:37]                                   // 000000005864: BEFE0124
	v_mov_b32_e32 v6, v38                                      // 000000005868: 7E0C0326
	s_mov_b64 s[60:61], 0                                      // 00000000586C: BEBC0180
	v_readlane_b32 s82, v3, 0                                  // 000000005870: D2890052 00010103
	s_and_b32 s82, s82, 0xffffff                               // 000000005878: 8652FF52 00FFFFFF
	s_cmp_lt_u32 s82, s66                                      // 000000005880: BF0A4252
	s_cselect_b32 s20, s36, s60                                // 000000005884: 85143C24
	v_readlane_b32 s82, v3, 1                                  // 000000005888: D2890052 00010303
	s_and_b32 s82, s82, 0xffffff                               // 000000005890: 8652FF52 00FFFFFF
	s_cmp_lt_u32 s82, s66                                      // 000000005898: BF0A4252
	s_cselect_b32 s21, s36, s60                                // 00000000589C: 85153C24
	s_mov_b64 exec, s[20:21]                                   // 0000000058A0: BEFE0114
	global_atomic_add_f32 v6, v62, s[8:9] offset:8             // 0000000058A4: DD348008 00083E06
	global_atomic_add_f32 v6, v66, s[8:9] offset:264           // 0000000058AC: DD348108 00084206
	s_mov_b64 exec, s[36:37]                                   // 0000000058B4: BEFE0124
	v_mov_b32_e32 v6, v39                                      // 0000000058B8: 7E0C0327
	s_mov_b64 s[60:61], 0                                      // 0000000058BC: BEBC0180
	v_readlane_b32 s82, v3, 2                                  // 0000000058C0: D2890052 00010503
	s_and_b32 s82, s82, 0xffffff                               // 0000000058C8: 8652FF52 00FFFFFF
	s_cmp_lt_u32 s82, s66                                      // 0000000058D0: BF0A4252
	s_cselect_b32 s20, s36, s60                                // 0000000058D4: 85143C24
	v_readlane_b32 s82, v3, 3                                  // 0000000058D8: D2890052 00010703
	s_and_b32 s82, s82, 0xffffff                               // 0000000058E0: 8652FF52 00FFFFFF
	s_cmp_lt_u32 s82, s66                                      // 0000000058E8: BF0A4252
	s_cselect_b32 s21, s36, s60                                // 0000000058EC: 85153C24
	s_mov_b64 exec, s[20:21]                                   // 0000000058F0: BEFE0114
	global_atomic_add_f32 v6, v63, s[8:9] offset:8             // 0000000058F4: DD348008 00083F06
	global_atomic_add_f32 v6, v67, s[8:9] offset:264           // 0000000058FC: DD348108 00084306
	s_mov_b64 exec, s[36:37]                                   // 000000005904: BEFE0124
	v_mov_b32_e32 v6, v40                                      // 000000005908: 7E0C0328
	s_mov_b64 s[60:61], 0                                      // 00000000590C: BEBC0180
	v_readlane_b32 s82, v3, 4                                  // 000000005910: D2890052 00010903
	s_and_b32 s82, s82, 0xffffff                               // 000000005918: 8652FF52 00FFFFFF
	s_cmp_lt_u32 s82, s66                                      // 000000005920: BF0A4252
	s_cselect_b32 s20, s36, s60                                // 000000005924: 85143C24
	v_readlane_b32 s82, v3, 5                                  // 000000005928: D2890052 00010B03
	s_and_b32 s82, s82, 0xffffff                               // 000000005930: 8652FF52 00FFFFFF
	s_cmp_lt_u32 s82, s66                                      // 000000005938: BF0A4252
	s_cselect_b32 s21, s36, s60                                // 00000000593C: 85153C24
	s_mov_b64 exec, s[20:21]                                   // 000000005940: BEFE0114
	global_atomic_add_f32 v6, v70, s[8:9] offset:8             // 000000005944: DD348008 00084606
	global_atomic_add_f32 v6, v74, s[8:9] offset:264           // 00000000594C: DD348108 00084A06
	s_mov_b64 exec, s[36:37]                                   // 000000005954: BEFE0124
	v_mov_b32_e32 v6, v41                                      // 000000005958: 7E0C0329
	s_mov_b64 s[60:61], 0                                      // 00000000595C: BEBC0180
	v_readlane_b32 s82, v3, 6                                  // 000000005960: D2890052 00010D03
	s_and_b32 s82, s82, 0xffffff                               // 000000005968: 8652FF52 00FFFFFF
	s_cmp_lt_u32 s82, s66                                      // 000000005970: BF0A4252
	s_cselect_b32 s20, s36, s60                                // 000000005974: 85143C24
	v_readlane_b32 s82, v3, 7                                  // 000000005978: D2890052 00010F03
	s_and_b32 s82, s82, 0xffffff                               // 000000005980: 8652FF52 00FFFFFF
	s_cmp_lt_u32 s82, s66                                      // 000000005988: BF0A4252
	s_cselect_b32 s21, s36, s60                                // 00000000598C: 85153C24
	s_mov_b64 exec, s[20:21]                                   // 000000005990: BEFE0114
	global_atomic_add_f32 v6, v71, s[8:9] offset:8             // 000000005994: DD348008 00084706
	global_atomic_add_f32 v6, v75, s[8:9] offset:264           // 00000000599C: DD348108 00084B06
	s_mov_b64 exec, s[36:37]                                   // 0000000059A4: BEFE0124
	s_branch label_15F6                                        // 0000000059A8: BF820A08

00000000000059ac <label_0BEE>:
	s_waitcnt vmcnt(11) lgkmcnt(0)                             // 0000000059AC: BF8C007B
	v_mul_f32_dpp v4, v24, v32 row_newbcast:0 row_mask:0xf bank_mask:0xf// 0000000059B0: 0A0840FA FF015018
	v_mfma_f32_16x16x32_fp8_fp8 v[8:11], a[32:33], a[0:1], 0   // 0000000059B8: D3F30008 1A020120
	buffer_load_dword v25, v22, s[32:35], 0 offen              // 0000000059C0: E0501000 80081916
	buffer_load_dwordx4 a[64:67], v42, s[24:27], 0 offen       // 0000000059C8: E05C1000 8086402A
	v_mfma_f32_16x16x32_fp8_fp8 v[8:11], a[34:35], a[2:3], v[8:11]// 0000000059D0: D3F30008 1C220522
	v_mfma_f32_16x16x32_fp8_fp8 v[8:11], a[36:37], a[4:5], v[8:11]// 0000000059D8: D3F30008 1C220924
	v_mfma_f32_16x16x32_fp8_fp8 v[8:11], a[38:39], a[6:7], v[8:11]// 0000000059E0: D3F30008 1C220D26
	v_mfma_f32_16x16x32_fp8_fp8 v[12:15], a[40:41], a[0:1], 0  // 0000000059E8: D3F3000C 1A020128
	buffer_load_dwordx4 a[68:71], v42, s[24:27], 0 offen offset:1024// 0000000059F0: E05C1400 8086442A
	v_mfma_f32_16x16x32_fp8_fp8 v[12:15], a[42:43], a[2:3], v[12:15]// 0000000059F8: D3F3000C 1C32052A
	v_mfma_f32_16x16x32_fp8_fp8 v[12:15], a[44:45], a[4:5], v[12:15]// 000000005A00: D3F3000C 1C32092C
	v_mfma_f32_16x16x32_fp8_fp8 v[12:15], a[46:47], a[6:7], v[12:15]// 000000005A08: D3F3000C 1C320D2E
	v_fma_f32 v44, v8, v4, v44                                 // 000000005A10: D1CB002C 04B20908
	v_fma_f32 v45, v9, v4, v45                                 // 000000005A18: D1CB002D 04B60909
	v_fma_f32 v46, v10, v4, v46                                // 000000005A20: D1CB002E 04BA090A
	v_fma_f32 v47, v11, v4, v47                                // 000000005A28: D1CB002F 04BE090B
	v_mul_f32_dpp v6, v24, v33 row_newbcast:0 row_mask:0xf bank_mask:0xf// 000000005A30: 0A0C42FA FF015018
	v_mfma_f32_16x16x32_fp8_fp8 v[8:11], a[32:33], a[8:9], 0   // 000000005A38: D3F30008 1A021120
	buffer_load_dwordx4 a[72:75], v43, s[24:27], 0 offen       // 000000005A40: E05C1000 8086482B
	v_mfma_f32_16x16x32_fp8_fp8 v[8:11], a[34:35], a[10:11], v[8:11]// 000000005A48: D3F30008 1C221522
	v_mfma_f32_16x16x32_fp8_fp8 v[8:11], a[36:37], a[12:13], v[8:11]// 000000005A50: D3F30008 1C221924
	v_mfma_f32_16x16x32_fp8_fp8 v[8:11], a[38:39], a[14:15], v[8:11]// 000000005A58: D3F30008 1C221D26
	v_fma_f32 v52, v12, v4, v52                                // 000000005A60: D1CB0034 04D2090C
	v_fma_f32 v53, v13, v4, v53                                // 000000005A68: D1CB0035 04D6090D
	v_fma_f32 v54, v14, v4, v54                                // 000000005A70: D1CB0036 04DA090E
	v_fma_f32 v55, v15, v4, v55                                // 000000005A78: D1CB0037 04DE090F
	v_mfma_f32_16x16x32_fp8_fp8 v[12:15], a[40:41], a[8:9], 0  // 000000005A80: D3F3000C 1A021128
	buffer_load_dwordx4 a[76:79], v43, s[24:27], 0 offen offset:1024// 000000005A88: E05C1400 80864C2B
	buffer_load_dword v38, s[20:23], 0 offen lds               // 000000005A90: E0511000 80050026
	s_add_u32 m0, 0x100, s50                                   // 000000005A98: 807C32FF 00000100
	v_mfma_f32_16x16x32_fp8_fp8 v[12:15], a[42:43], a[10:11], v[12:15]// 000000005AA0: D3F3000C 1C32152A
	v_mfma_f32_16x16x32_fp8_fp8 v[12:15], a[44:45], a[12:13], v[12:15]// 000000005AA8: D3F3000C 1C32192C
	buffer_load_dword v39, s[20:23], 0 offen lds               // 000000005AB0: E0511000 80050027
	s_add_u32 m0, 0x200, s50                                   // 000000005AB8: 807C32FF 00000200
	v_mfma_f32_16x16x32_fp8_fp8 v[12:15], a[46:47], a[14:15], v[12:15]// 000000005AC0: D3F3000C 1C321D2E
	v_fma_f32 v48, v8, v6, v48                                 // 000000005AC8: D1CB0030 04C20D08
	v_fma_f32 v49, v9, v6, v49                                 // 000000005AD0: D1CB0031 04C60D09
	v_fma_f32 v50, v10, v6, v50                                // 000000005AD8: D1CB0032 04CA0D0A
	v_fma_f32 v51, v11, v6, v51                                // 000000005AE0: D1CB0033 04CE0D0B
	v_fma_f32 v56, v12, v6, v56                                // 000000005AE8: D1CB0038 04E20D0C
	v_fma_f32 v57, v13, v6, v57                                // 000000005AF0: D1CB0039 04E60D0D
	v_fma_f32 v58, v14, v6, v58                                // 000000005AF8: D1CB003A 04EA0D0E
	v_fma_f32 v59, v15, v6, v59                                // 000000005B00: D1CB003B 04EE0D0F
	buffer_load_dword v40, s[20:23], 0 offen lds               // 000000005B08: E0511000 80050028
	s_add_u32 m0, 0x300, s50                                   // 000000005B10: 807C32FF 00000300
	buffer_load_dword v41, s[20:23], 0 offen lds               // 000000005B18: E0511000 80050029
	s_add_u32 m0, 0, s48                                       // 000000005B20: 807C3080
	buffer_load_dword v36, v30, s[28:31], 0 offen              // 000000005B24: E0501000 8007241E
	buffer_load_dword v37, v31, s[28:31], 0 offen              // 000000005B2C: E0501000 8007251F
	s_waitcnt vmcnt(11)                                        // 000000005B34: BF8C0F7B
	s_barrier                                                  // 000000005B38: BF8A0000
	v_mul_f32_dpp v4, v27, v32 row_newbcast:0 row_mask:0xf bank_mask:0xf// 000000005B3C: 0A0840FA FF01501B
	v_mfma_f32_16x16x32_fp8_fp8 v[8:11], a[48:49], a[0:1], 0   // 000000005B44: D3F30008 1A020130
	buffer_load_dword v28, v23, s[32:35], 0 offen              // 000000005B4C: E0501000 80081C17
	buffer_load_dwordx4 a[32:35], v42, s[84:87], 0 offen       // 000000005B54: E05C1000 8095202A
	v_mfma_f32_16x16x32_fp8_fp8 v[8:11], a[50:51], a[2:3], v[8:11]// 000000005B5C: D3F30008 1C220532
	v_mfma_f32_16x16x32_fp8_fp8 v[8:11], a[52:53], a[4:5], v[8:11]// 000000005B64: D3F30008 1C220934
	ds_read_b128 a[16:19], v2 offset:4224                      // 000000005B6C: DBFE1080 10000002
	ds_read_b128 a[20:23], v2 offset:4288                      // 000000005B74: DBFE10C0 14000002
	v_mfma_f32_16x16x32_fp8_fp8 v[8:11], a[54:55], a[6:7], v[8:11]// 000000005B7C: D3F30008 1C220D36
	v_mfma_f32_16x16x32_fp8_fp8 v[12:15], a[56:57], a[0:1], 0  // 000000005B84: D3F3000C 1A020138
	buffer_load_dwordx4 a[36:39], v42, s[84:87], 0 offen offset:1024// 000000005B8C: E05C1400 8095242A
	v_mfma_f32_16x16x32_fp8_fp8 v[12:15], a[58:59], a[2:3], v[12:15]// 000000005B94: D3F3000C 1C32053A
	v_mfma_f32_16x16x32_fp8_fp8 v[12:15], a[60:61], a[4:5], v[12:15]// 000000005B9C: D3F3000C 1C32093C
	ds_read_b128 a[24:27], v2 offset:4736                      // 000000005BA4: DBFE1280 18000002
	ds_read_b128 a[28:31], v2 offset:4800                      // 000000005BAC: DBFE12C0 1C000002
	v_mfma_f32_16x16x32_fp8_fp8 v[12:15], a[62:63], a[6:7], v[12:15]// 000000005BB4: D3F3000C 1C320D3E
	v_fma_f32 v60, v8, v4, v60                                 // 000000005BBC: D1CB003C 04F20908
	v_fma_f32 v61, v9, v4, v61                                 // 000000005BC4: D1CB003D 04F60909
	v_fma_f32 v62, v10, v4, v62                                // 000000005BCC: D1CB003E 04FA090A
	v_fma_f32 v63, v11, v4, v63                                // 000000005BD4: D1CB003F 04FE090B
	v_mul_f32_dpp v6, v27, v33 row_newbcast:0 row_mask:0xf bank_mask:0xf// 000000005BDC: 0A0C42FA FF01501B
	v_mfma_f32_16x16x32_fp8_fp8 v[8:11], a[48:49], a[8:9], 0   // 000000005BE4: D3F30008 1A021130
	buffer_load_dwordx4 a[40:43], v43, s[84:87], 0 offen       // 000000005BEC: E05C1000 8095282B
	s_add_u32 s60, 0x180, s80                                  // 000000005BF4: 803C50FF 00000180
	s_cmp_lt_u32 s60, s81                                      // 000000005BFC: BF0A513C
	s_cselect_b32 s57, s57, 0                                  // 000000005C00: 85398039
	s_cselect_b32 s3, s3, 0                                    // 000000005C04: 85038003
	v_mfma_f32_16x16x32_fp8_fp8 v[8:11], a[50:51], a[10:11], v[8:11]// 000000005C08: D3F30008 1C221532
	s_add_u32 s60, 0x100, s80                                  // 000000005C10: 803C50FF 00000100
	s_cmp_lt_u32 s60, s81                                      // 000000005C18: BF0A513C
	s_cselect_b32 s58, s58, 0                                  // 000000005C1C: 853A803A
	v_mfma_f32_16x16x32_fp8_fp8 v[8:11], a[52:53], a[12:13], v[8:11]// 000000005C20: D3F30008 1C221934
	s_add_u32 s60, 0x100, s80                                  // 000000005C28: 803C50FF 00000100
	s_cmp_lt_u32 s60, s81                                      // 000000005C30: BF0A513C
	s_cselect_b32 s83, s83, 0                                  // 000000005C34: 85538053
	s_cselect_b32 s4, s4, 0                                    // 000000005C38: 85048004
	v_mfma_f32_16x16x32_fp8_fp8 v[8:11], a[54:55], a[14:15], v[8:11]// 000000005C3C: D3F30008 1C221D36
	s_add_u32 s24, s58, s24                                    // 000000005C44: 8018183A
	s_addc_u32 s25, 0, s25                                     // 000000005C48: 82191980
	v_fma_f32 v68, v12, v4, v68                                // 000000005C4C: D1CB0044 0512090C
	v_fma_f32 v69, v13, v4, v69                                // 000000005C54: D1CB0045 0516090D
	v_fma_f32 v70, v14, v4, v70                                // 000000005C5C: D1CB0046 051A090E
	v_fma_f32 v71, v15, v4, v71                                // 000000005C64: D1CB0047 051E090F
	v_mfma_f32_16x16x32_fp8_fp8 v[12:15], a[56:57], a[8:9], 0  // 000000005C6C: D3F3000C 1A021138
	buffer_load_dwordx4 a[44:47], v43, s[84:87], 0 offen offset:1024// 000000005C74: E05C1400 80952C2B
	s_add_u32 s20, s57, s20                                    // 000000005C7C: 80141439
	s_addc_u32 s21, 0, s21                                     // 000000005C80: 82151580
	s_add_u32 s28, s3, s28                                     // 000000005C84: 801C1C03
	s_addc_u32 s29, 0, s29                                     // 000000005C88: 821D1D80
	v_mfma_f32_16x16x32_fp8_fp8 v[12:15], a[58:59], a[10:11], v[12:15]// 000000005C8C: D3F3000C 1C32153A
	s_add_u32 s84, s83, s84                                    // 000000005C94: 80545453
	s_addc_u32 s85, 0, s85                                     // 000000005C98: 82555580
	v_mfma_f32_16x16x32_fp8_fp8 v[12:15], a[60:61], a[12:13], v[12:15]// 000000005C9C: D3F3000C 1C32193C
	s_add_u32 s32, s4, s32                                     // 000000005CA4: 80202004
	s_addc_u32 s33, 0, s33                                     // 000000005CA8: 82212180
	v_mfma_f32_16x16x32_fp8_fp8 v[12:15], a[62:63], a[14:15], v[12:15]// 000000005CAC: D3F3000C 1C321D3E
	v_fma_f32 v64, v8, v6, v64                                 // 000000005CB4: D1CB0040 05020D08
	v_fma_f32 v65, v9, v6, v65                                 // 000000005CBC: D1CB0041 05060D09
	v_fma_f32 v66, v10, v6, v66                                // 000000005CC4: D1CB0042 050A0D0A
	v_fma_f32 v67, v11, v6, v67                                // 000000005CCC: D1CB0043 050E0D0B
	v_fma_f32 v72, v12, v6, v72                                // 000000005CD4: D1CB0048 05220D0C
	v_fma_f32 v73, v13, v6, v73                                // 000000005CDC: D1CB0049 05260D0D
	v_fma_f32 v74, v14, v6, v74                                // 000000005CE4: D1CB004A 052A0D0E
	v_fma_f32 v75, v15, v6, v75                                // 000000005CEC: D1CB004B 052E0D0F
	s_addk_i32 s80, 0x80                                       // 000000005CF4: B7500080
	s_cmp_lt_i32 s80, s81                                      // 000000005CF8: BF045150
	s_cbranch_scc0 label_10ED                                  // 000000005CFC: BF84042A
	s_waitcnt vmcnt(11) lgkmcnt(0)                             // 000000005D00: BF8C007B
	v_mul_f32_dpp v4, v25, v34 row_newbcast:0 row_mask:0xf bank_mask:0xf// 000000005D04: 0A0844FA FF015019
	v_mfma_f32_16x16x32_fp8_fp8 v[8:11], a[64:65], a[16:17], 0 // 000000005D0C: D3F30008 1A022140
	buffer_load_dword v26, v22, s[32:35], 0 offen              // 000000005D14: E0501000 80081A16
	buffer_load_dwordx4 a[48:51], v42, s[24:27], 0 offen       // 000000005D1C: E05C1000 8086302A
	v_mfma_f32_16x16x32_fp8_fp8 v[8:11], a[66:67], a[18:19], v[8:11]// 000000005D24: D3F30008 1C222542
	v_mfma_f32_16x16x32_fp8_fp8 v[8:11], a[68:69], a[20:21], v[8:11]// 000000005D2C: D3F30008 1C222944
	v_mfma_f32_16x16x32_fp8_fp8 v[8:11], a[70:71], a[22:23], v[8:11]// 000000005D34: D3F30008 1C222D46
	v_mfma_f32_16x16x32_fp8_fp8 v[12:15], a[72:73], a[16:17], 0// 000000005D3C: D3F3000C 1A022148
	buffer_load_dwordx4 a[52:55], v42, s[24:27], 0 offen offset:1024// 000000005D44: E05C1400 8086342A
	v_mfma_f32_16x16x32_fp8_fp8 v[12:15], a[74:75], a[18:19], v[12:15]// 000000005D4C: D3F3000C 1C32254A
	v_mfma_f32_16x16x32_fp8_fp8 v[12:15], a[76:77], a[20:21], v[12:15]// 000000005D54: D3F3000C 1C32294C
	v_mfma_f32_16x16x32_fp8_fp8 v[12:15], a[78:79], a[22:23], v[12:15]// 000000005D5C: D3F3000C 1C322D4E
	v_fma_f32 v44, v8, v4, v44                                 // 000000005D64: D1CB002C 04B20908
	v_fma_f32 v45, v9, v4, v45                                 // 000000005D6C: D1CB002D 04B60909
	v_fma_f32 v46, v10, v4, v46                                // 000000005D74: D1CB002E 04BA090A
	v_fma_f32 v47, v11, v4, v47                                // 000000005D7C: D1CB002F 04BE090B
	v_mul_f32_dpp v6, v25, v35 row_newbcast:0 row_mask:0xf bank_mask:0xf// 000000005D84: 0A0C46FA FF015019
	v_mfma_f32_16x16x32_fp8_fp8 v[8:11], a[64:65], a[24:25], 0 // 000000005D8C: D3F30008 1A023140
	buffer_load_dwordx4 a[56:59], v43, s[24:27], 0 offen       // 000000005D94: E05C1000 8086382B
	v_mfma_f32_16x16x32_fp8_fp8 v[8:11], a[66:67], a[26:27], v[8:11]// 000000005D9C: D3F30008 1C223542
	v_mfma_f32_16x16x32_fp8_fp8 v[8:11], a[68:69], a[28:29], v[8:11]// 000000005DA4: D3F30008 1C223944
	v_mfma_f32_16x16x32_fp8_fp8 v[8:11], a[70:71], a[30:31], v[8:11]// 000000005DAC: D3F30008 1C223D46
	v_fma_f32 v52, v12, v4, v52                                // 000000005DB4: D1CB0034 04D2090C
	v_fma_f32 v53, v13, v4, v53                                // 000000005DBC: D1CB0035 04D6090D
	v_fma_f32 v54, v14, v4, v54                                // 000000005DC4: D1CB0036 04DA090E
	v_fma_f32 v55, v15, v4, v55                                // 000000005DCC: D1CB0037 04DE090F
	v_mfma_f32_16x16x32_fp8_fp8 v[12:15], a[72:73], a[24:25], 0// 000000005DD4: D3F3000C 1A023148
	buffer_load_dwordx4 a[60:63], v43, s[24:27], 0 offen offset:1024// 000000005DDC: E05C1400 80863C2B
	buffer_load_dword v38, s[20:23], 0 offen lds               // 000000005DE4: E0511000 80050026
	s_add_u32 m0, 0x100, s48                                   // 000000005DEC: 807C30FF 00000100
	v_mfma_f32_16x16x32_fp8_fp8 v[12:15], a[74:75], a[26:27], v[12:15]// 000000005DF4: D3F3000C 1C32354A
	v_mfma_f32_16x16x32_fp8_fp8 v[12:15], a[76:77], a[28:29], v[12:15]// 000000005DFC: D3F3000C 1C32394C
	buffer_load_dword v39, s[20:23], 0 offen lds               // 000000005E04: E0511000 80050027
	s_add_u32 m0, 0x200, s48                                   // 000000005E0C: 807C30FF 00000200
	v_mfma_f32_16x16x32_fp8_fp8 v[12:15], a[78:79], a[30:31], v[12:15]// 000000005E14: D3F3000C 1C323D4E
	v_fma_f32 v48, v8, v6, v48                                 // 000000005E1C: D1CB0030 04C20D08
	v_fma_f32 v49, v9, v6, v49                                 // 000000005E24: D1CB0031 04C60D09
	v_fma_f32 v50, v10, v6, v50                                // 000000005E2C: D1CB0032 04CA0D0A
	v_fma_f32 v51, v11, v6, v51                                // 000000005E34: D1CB0033 04CE0D0B
	v_fma_f32 v56, v12, v6, v56                                // 000000005E3C: D1CB0038 04E20D0C
	v_fma_f32 v57, v13, v6, v57                                // 000000005E44: D1CB0039 04E60D0D
	v_fma_f32 v58, v14, v6, v58                                // 000000005E4C: D1CB003A 04EA0D0E
	v_fma_f32 v59, v15, v6, v59                                // 000000005E54: D1CB003B 04EE0D0F
	buffer_load_dword v40, s[20:23], 0 offen lds               // 000000005E5C: E0511000 80050028
	s_add_u32 m0, 0x300, s48                                   // 000000005E64: 807C30FF 00000300
	buffer_load_dword v41, s[20:23], 0 offen lds               // 000000005E6C: E0511000 80050029
	s_add_u32 m0, 0, s49                                       // 000000005E74: 807C3180
	buffer_load_dword v32, v30, s[28:31], 0 offen              // 000000005E78: E0501000 8007201E
	buffer_load_dword v33, v31, s[28:31], 0 offen              // 000000005E80: E0501000 8007211F
	s_waitcnt vmcnt(11)                                        // 000000005E88: BF8C0F7B
	s_barrier                                                  // 000000005E8C: BF8A0000
	v_mul_f32_dpp v4, v28, v34 row_newbcast:0 row_mask:0xf bank_mask:0xf// 000000005E90: 0A0844FA FF01501C
	v_mfma_f32_16x16x32_fp8_fp8 v[8:11], a[32:33], a[16:17], 0 // 000000005E98: D3F30008 1A022120
	buffer_load_dword v29, v23, s[32:35], 0 offen              // 000000005EA0: E0501000 80081D17
	buffer_load_dwordx4 a[64:67], v42, s[84:87], 0 offen       // 000000005EA8: E05C1000 8095402A
	v_mfma_f32_16x16x32_fp8_fp8 v[8:11], a[34:35], a[18:19], v[8:11]// 000000005EB0: D3F30008 1C222522
	v_mfma_f32_16x16x32_fp8_fp8 v[8:11], a[36:37], a[20:21], v[8:11]// 000000005EB8: D3F30008 1C222924
	ds_read_b128 a[0:3], v2 offset:8448                        // 000000005EC0: DBFE2100 00000002
	ds_read_b128 a[4:7], v2 offset:8512                        // 000000005EC8: DBFE2140 04000002
	v_mfma_f32_16x16x32_fp8_fp8 v[8:11], a[38:39], a[22:23], v[8:11]// 000000005ED0: D3F30008 1C222D26
	v_mfma_f32_16x16x32_fp8_fp8 v[12:15], a[40:41], a[16:17], 0// 000000005ED8: D3F3000C 1A022128
	buffer_load_dwordx4 a[68:71], v42, s[84:87], 0 offen offset:1024// 000000005EE0: E05C1400 8095442A
	v_mfma_f32_16x16x32_fp8_fp8 v[12:15], a[42:43], a[18:19], v[12:15]// 000000005EE8: D3F3000C 1C32252A
	v_mfma_f32_16x16x32_fp8_fp8 v[12:15], a[44:45], a[20:21], v[12:15]// 000000005EF0: D3F3000C 1C32292C
	ds_read_b128 a[8:11], v2 offset:8960                       // 000000005EF8: DBFE2300 08000002
	ds_read_b128 a[12:15], v2 offset:9024                      // 000000005F00: DBFE2340 0C000002
	v_mfma_f32_16x16x32_fp8_fp8 v[12:15], a[46:47], a[22:23], v[12:15]// 000000005F08: D3F3000C 1C322D2E
	v_fma_f32 v60, v8, v4, v60                                 // 000000005F10: D1CB003C 04F20908
	v_fma_f32 v61, v9, v4, v61                                 // 000000005F18: D1CB003D 04F60909
	v_fma_f32 v62, v10, v4, v62                                // 000000005F20: D1CB003E 04FA090A
	v_fma_f32 v63, v11, v4, v63                                // 000000005F28: D1CB003F 04FE090B
	v_mul_f32_dpp v6, v28, v35 row_newbcast:0 row_mask:0xf bank_mask:0xf// 000000005F30: 0A0C46FA FF01501C
	v_mfma_f32_16x16x32_fp8_fp8 v[8:11], a[32:33], a[24:25], 0 // 000000005F38: D3F30008 1A023120
	buffer_load_dwordx4 a[72:75], v43, s[84:87], 0 offen       // 000000005F40: E05C1000 8095482B
	s_add_u32 s60, 0x180, s80                                  // 000000005F48: 803C50FF 00000180
	s_cmp_lt_u32 s60, s81                                      // 000000005F50: BF0A513C
	s_cselect_b32 s57, s57, 0                                  // 000000005F54: 85398039
	s_cselect_b32 s3, s3, 0                                    // 000000005F58: 85038003
	v_mfma_f32_16x16x32_fp8_fp8 v[8:11], a[34:35], a[26:27], v[8:11]// 000000005F5C: D3F30008 1C223522
	s_add_u32 s60, 0x100, s80                                  // 000000005F64: 803C50FF 00000100
	s_cmp_lt_u32 s60, s81                                      // 000000005F6C: BF0A513C
	s_cselect_b32 s58, s58, 0                                  // 000000005F70: 853A803A
	v_mfma_f32_16x16x32_fp8_fp8 v[8:11], a[36:37], a[28:29], v[8:11]// 000000005F74: D3F30008 1C223924
	s_add_u32 s60, 0x100, s80                                  // 000000005F7C: 803C50FF 00000100
	s_cmp_lt_u32 s60, s81                                      // 000000005F84: BF0A513C
	s_cselect_b32 s83, s83, 0                                  // 000000005F88: 85538053
	s_cselect_b32 s4, s4, 0                                    // 000000005F8C: 85048004
	v_mfma_f32_16x16x32_fp8_fp8 v[8:11], a[38:39], a[30:31], v[8:11]// 000000005F90: D3F30008 1C223D26
	s_add_u32 s24, s58, s24                                    // 000000005F98: 8018183A
	s_addc_u32 s25, 0, s25                                     // 000000005F9C: 82191980
	v_fma_f32 v68, v12, v4, v68                                // 000000005FA0: D1CB0044 0512090C
	v_fma_f32 v69, v13, v4, v69                                // 000000005FA8: D1CB0045 0516090D
	v_fma_f32 v70, v14, v4, v70                                // 000000005FB0: D1CB0046 051A090E
	v_fma_f32 v71, v15, v4, v71                                // 000000005FB8: D1CB0047 051E090F
	v_mfma_f32_16x16x32_fp8_fp8 v[12:15], a[40:41], a[24:25], 0// 000000005FC0: D3F3000C 1A023128
	buffer_load_dwordx4 a[76:79], v43, s[84:87], 0 offen offset:1024// 000000005FC8: E05C1400 80954C2B
	s_add_u32 s20, s57, s20                                    // 000000005FD0: 80141439
	s_addc_u32 s21, 0, s21                                     // 000000005FD4: 82151580
	s_add_u32 s28, s3, s28                                     // 000000005FD8: 801C1C03
	s_addc_u32 s29, 0, s29                                     // 000000005FDC: 821D1D80
	v_mfma_f32_16x16x32_fp8_fp8 v[12:15], a[42:43], a[26:27], v[12:15]// 000000005FE0: D3F3000C 1C32352A
	s_add_u32 s84, s83, s84                                    // 000000005FE8: 80545453
	s_addc_u32 s85, 0, s85                                     // 000000005FEC: 82555580
	v_mfma_f32_16x16x32_fp8_fp8 v[12:15], a[44:45], a[28:29], v[12:15]// 000000005FF0: D3F3000C 1C32392C
	s_add_u32 s32, s4, s32                                     // 000000005FF8: 80202004
	s_addc_u32 s33, 0, s33                                     // 000000005FFC: 82212180
	v_mfma_f32_16x16x32_fp8_fp8 v[12:15], a[46:47], a[30:31], v[12:15]// 000000006000: D3F3000C 1C323D2E
	v_fma_f32 v64, v8, v6, v64                                 // 000000006008: D1CB0040 05020D08
	v_fma_f32 v65, v9, v6, v65                                 // 000000006010: D1CB0041 05060D09
	v_fma_f32 v66, v10, v6, v66                                // 000000006018: D1CB0042 050A0D0A
	v_fma_f32 v67, v11, v6, v67                                // 000000006020: D1CB0043 050E0D0B
	v_fma_f32 v72, v12, v6, v72                                // 000000006028: D1CB0048 05220D0C
	v_fma_f32 v73, v13, v6, v73                                // 000000006030: D1CB0049 05260D0D
	v_fma_f32 v74, v14, v6, v74                                // 000000006038: D1CB004A 052A0D0E
	v_fma_f32 v75, v15, v6, v75                                // 000000006040: D1CB004B 052E0D0F
	s_addk_i32 s80, 0x80                                       // 000000006048: B7500080
	s_cmp_lt_i32 s80, s81                                      // 00000000604C: BF045150
	s_cbranch_scc0 label_10ED                                  // 000000006050: BF840355
	s_waitcnt vmcnt(11) lgkmcnt(0)                             // 000000006054: BF8C007B
	v_mul_f32_dpp v4, v26, v36 row_newbcast:0 row_mask:0xf bank_mask:0xf// 000000006058: 0A0848FA FF01501A
	v_mfma_f32_16x16x32_fp8_fp8 v[8:11], a[48:49], a[0:1], 0   // 000000006060: D3F30008 1A020130
	buffer_load_dword v24, v22, s[32:35], 0 offen              // 000000006068: E0501000 80081816
	buffer_load_dwordx4 a[32:35], v42, s[24:27], 0 offen       // 000000006070: E05C1000 8086202A
	v_mfma_f32_16x16x32_fp8_fp8 v[8:11], a[50:51], a[2:3], v[8:11]// 000000006078: D3F30008 1C220532
	v_mfma_f32_16x16x32_fp8_fp8 v[8:11], a[52:53], a[4:5], v[8:11]// 000000006080: D3F30008 1C220934
	v_mfma_f32_16x16x32_fp8_fp8 v[8:11], a[54:55], a[6:7], v[8:11]// 000000006088: D3F30008 1C220D36
	v_mfma_f32_16x16x32_fp8_fp8 v[12:15], a[56:57], a[0:1], 0  // 000000006090: D3F3000C 1A020138
	buffer_load_dwordx4 a[36:39], v42, s[24:27], 0 offen offset:1024// 000000006098: E05C1400 8086242A
	v_mfma_f32_16x16x32_fp8_fp8 v[12:15], a[58:59], a[2:3], v[12:15]// 0000000060A0: D3F3000C 1C32053A
	v_mfma_f32_16x16x32_fp8_fp8 v[12:15], a[60:61], a[4:5], v[12:15]// 0000000060A8: D3F3000C 1C32093C
	v_mfma_f32_16x16x32_fp8_fp8 v[12:15], a[62:63], a[6:7], v[12:15]// 0000000060B0: D3F3000C 1C320D3E
	v_fma_f32 v44, v8, v4, v44                                 // 0000000060B8: D1CB002C 04B20908
	v_fma_f32 v45, v9, v4, v45                                 // 0000000060C0: D1CB002D 04B60909
	v_fma_f32 v46, v10, v4, v46                                // 0000000060C8: D1CB002E 04BA090A
	v_fma_f32 v47, v11, v4, v47                                // 0000000060D0: D1CB002F 04BE090B
	v_mul_f32_dpp v6, v26, v37 row_newbcast:0 row_mask:0xf bank_mask:0xf// 0000000060D8: 0A0C4AFA FF01501A
	v_mfma_f32_16x16x32_fp8_fp8 v[8:11], a[48:49], a[8:9], 0   // 0000000060E0: D3F30008 1A021130
	buffer_load_dwordx4 a[40:43], v43, s[24:27], 0 offen       // 0000000060E8: E05C1000 8086282B
	v_mfma_f32_16x16x32_fp8_fp8 v[8:11], a[50:51], a[10:11], v[8:11]// 0000000060F0: D3F30008 1C221532
	v_mfma_f32_16x16x32_fp8_fp8 v[8:11], a[52:53], a[12:13], v[8:11]// 0000000060F8: D3F30008 1C221934
	v_mfma_f32_16x16x32_fp8_fp8 v[8:11], a[54:55], a[14:15], v[8:11]// 000000006100: D3F30008 1C221D36
	v_fma_f32 v52, v12, v4, v52                                // 000000006108: D1CB0034 04D2090C
	v_fma_f32 v53, v13, v4, v53                                // 000000006110: D1CB0035 04D6090D
	v_fma_f32 v54, v14, v4, v54                                // 000000006118: D1CB0036 04DA090E
	v_fma_f32 v55, v15, v4, v55                                // 000000006120: D1CB0037 04DE090F
	v_mfma_f32_16x16x32_fp8_fp8 v[12:15], a[56:57], a[8:9], 0  // 000000006128: D3F3000C 1A021138
	buffer_load_dwordx4 a[44:47], v43, s[24:27], 0 offen offset:1024// 000000006130: E05C1400 80862C2B
	buffer_load_dword v38, s[20:23], 0 offen lds               // 000000006138: E0511000 80050026
	s_add_u32 m0, 0x100, s49                                   // 000000006140: 807C31FF 00000100
	v_mfma_f32_16x16x32_fp8_fp8 v[12:15], a[58:59], a[10:11], v[12:15]// 000000006148: D3F3000C 1C32153A
	v_mfma_f32_16x16x32_fp8_fp8 v[12:15], a[60:61], a[12:13], v[12:15]// 000000006150: D3F3000C 1C32193C
	buffer_load_dword v39, s[20:23], 0 offen lds               // 000000006158: E0511000 80050027
	s_add_u32 m0, 0x200, s49                                   // 000000006160: 807C31FF 00000200
	v_mfma_f32_16x16x32_fp8_fp8 v[12:15], a[62:63], a[14:15], v[12:15]// 000000006168: D3F3000C 1C321D3E
	v_fma_f32 v48, v8, v6, v48                                 // 000000006170: D1CB0030 04C20D08
	v_fma_f32 v49, v9, v6, v49                                 // 000000006178: D1CB0031 04C60D09
	v_fma_f32 v50, v10, v6, v50                                // 000000006180: D1CB0032 04CA0D0A
	v_fma_f32 v51, v11, v6, v51                                // 000000006188: D1CB0033 04CE0D0B
	v_fma_f32 v56, v12, v6, v56                                // 000000006190: D1CB0038 04E20D0C
	v_fma_f32 v57, v13, v6, v57                                // 000000006198: D1CB0039 04E60D0D
	v_fma_f32 v58, v14, v6, v58                                // 0000000061A0: D1CB003A 04EA0D0E
	v_fma_f32 v59, v15, v6, v59                                // 0000000061A8: D1CB003B 04EE0D0F
	buffer_load_dword v40, s[20:23], 0 offen lds               // 0000000061B0: E0511000 80050028
	s_add_u32 m0, 0x300, s49                                   // 0000000061B8: 807C31FF 00000300
	buffer_load_dword v41, s[20:23], 0 offen lds               // 0000000061C0: E0511000 80050029
	s_add_u32 m0, 0, s50                                       // 0000000061C8: 807C3280
	buffer_load_dword v34, v30, s[28:31], 0 offen              // 0000000061CC: E0501000 8007221E
	buffer_load_dword v35, v31, s[28:31], 0 offen              // 0000000061D4: E0501000 8007231F
	s_waitcnt vmcnt(11)                                        // 0000000061DC: BF8C0F7B
	s_barrier                                                  // 0000000061E0: BF8A0000
	v_mul_f32_dpp v4, v29, v36 row_newbcast:0 row_mask:0xf bank_mask:0xf// 0000000061E4: 0A0848FA FF01501D
	v_mfma_f32_16x16x32_fp8_fp8 v[8:11], a[64:65], a[0:1], 0   // 0000000061EC: D3F30008 1A020140
	buffer_load_dword v27, v23, s[32:35], 0 offen              // 0000000061F4: E0501000 80081B17
	buffer_load_dwordx4 a[48:51], v42, s[84:87], 0 offen       // 0000000061FC: E05C1000 8095302A
	v_mfma_f32_16x16x32_fp8_fp8 v[8:11], a[66:67], a[2:3], v[8:11]// 000000006204: D3F30008 1C220542
	v_mfma_f32_16x16x32_fp8_fp8 v[8:11], a[68:69], a[4:5], v[8:11]// 00000000620C: D3F30008 1C220944
	ds_read_b128 a[16:19], v2                                  // 000000006214: DBFE0000 10000002
	ds_read_b128 a[20:23], v2 offset:64                        // 00000000621C: DBFE0040 14000002
	v_mfma_f32_16x16x32_fp8_fp8 v[8:11], a[70:71], a[6:7], v[8:11]// 000000006224: D3F30008 1C220D46
	v_mfma_f32_16x16x32_fp8_fp8 v[12:15], a[72:73], a[0:1], 0  // 00000000622C: D3F3000C 1A020148
	buffer_load_dwordx4 a[52:55], v42, s[84:87], 0 offen offset:1024// 000000006234: E05C1400 8095342A
	v_mfma_f32_16x16x32_fp8_fp8 v[12:15], a[74:75], a[2:3], v[12:15]// 00000000623C: D3F3000C 1C32054A
	v_mfma_f32_16x16x32_fp8_fp8 v[12:15], a[76:77], a[4:5], v[12:15]// 000000006244: D3F3000C 1C32094C
	ds_read_b128 a[24:27], v2 offset:512                       // 00000000624C: DBFE0200 18000002
	ds_read_b128 a[28:31], v2 offset:576                       // 000000006254: DBFE0240 1C000002
	v_mfma_f32_16x16x32_fp8_fp8 v[12:15], a[78:79], a[6:7], v[12:15]// 00000000625C: D3F3000C 1C320D4E
	v_fma_f32 v60, v8, v4, v60                                 // 000000006264: D1CB003C 04F20908
	v_fma_f32 v61, v9, v4, v61                                 // 00000000626C: D1CB003D 04F60909
	v_fma_f32 v62, v10, v4, v62                                // 000000006274: D1CB003E 04FA090A
	v_fma_f32 v63, v11, v4, v63                                // 00000000627C: D1CB003F 04FE090B
	v_mul_f32_dpp v6, v29, v37 row_newbcast:0 row_mask:0xf bank_mask:0xf// 000000006284: 0A0C4AFA FF01501D
	v_mfma_f32_16x16x32_fp8_fp8 v[8:11], a[64:65], a[8:9], 0   // 00000000628C: D3F30008 1A021140
	buffer_load_dwordx4 a[56:59], v43, s[84:87], 0 offen       // 000000006294: E05C1000 8095382B
	s_add_u32 s60, 0x180, s80                                  // 00000000629C: 803C50FF 00000180
	s_cmp_lt_u32 s60, s81                                      // 0000000062A4: BF0A513C
	s_cselect_b32 s57, s57, 0                                  // 0000000062A8: 85398039
	s_cselect_b32 s3, s3, 0                                    // 0000000062AC: 85038003
	v_mfma_f32_16x16x32_fp8_fp8 v[8:11], a[66:67], a[10:11], v[8:11]// 0000000062B0: D3F30008 1C221542
	s_add_u32 s60, 0x100, s80                                  // 0000000062B8: 803C50FF 00000100
	s_cmp_lt_u32 s60, s81                                      // 0000000062C0: BF0A513C
	s_cselect_b32 s58, s58, 0                                  // 0000000062C4: 853A803A
	v_mfma_f32_16x16x32_fp8_fp8 v[8:11], a[68:69], a[12:13], v[8:11]// 0000000062C8: D3F30008 1C221944
	s_add_u32 s60, 0x100, s80                                  // 0000000062D0: 803C50FF 00000100
	s_cmp_lt_u32 s60, s81                                      // 0000000062D8: BF0A513C
	s_cselect_b32 s83, s83, 0                                  // 0000000062DC: 85538053
	s_cselect_b32 s4, s4, 0                                    // 0000000062E0: 85048004
	v_mfma_f32_16x16x32_fp8_fp8 v[8:11], a[70:71], a[14:15], v[8:11]// 0000000062E4: D3F30008 1C221D46
	s_add_u32 s24, s58, s24                                    // 0000000062EC: 8018183A
	s_addc_u32 s25, 0, s25                                     // 0000000062F0: 82191980
	v_fma_f32 v68, v12, v4, v68                                // 0000000062F4: D1CB0044 0512090C
	v_fma_f32 v69, v13, v4, v69                                // 0000000062FC: D1CB0045 0516090D
	v_fma_f32 v70, v14, v4, v70                                // 000000006304: D1CB0046 051A090E
	v_fma_f32 v71, v15, v4, v71                                // 00000000630C: D1CB0047 051E090F
	v_mfma_f32_16x16x32_fp8_fp8 v[12:15], a[72:73], a[8:9], 0  // 000000006314: D3F3000C 1A021148
	buffer_load_dwordx4 a[60:63], v43, s[84:87], 0 offen offset:1024// 00000000631C: E05C1400 80953C2B
	s_add_u32 s20, s57, s20                                    // 000000006324: 80141439
	s_addc_u32 s21, 0, s21                                     // 000000006328: 82151580
	s_add_u32 s28, s3, s28                                     // 00000000632C: 801C1C03
	s_addc_u32 s29, 0, s29                                     // 000000006330: 821D1D80
	v_mfma_f32_16x16x32_fp8_fp8 v[12:15], a[74:75], a[10:11], v[12:15]// 000000006334: D3F3000C 1C32154A
	s_add_u32 s84, s83, s84                                    // 00000000633C: 80545453
	s_addc_u32 s85, 0, s85                                     // 000000006340: 82555580
	v_mfma_f32_16x16x32_fp8_fp8 v[12:15], a[76:77], a[12:13], v[12:15]// 000000006344: D3F3000C 1C32194C
	s_add_u32 s32, s4, s32                                     // 00000000634C: 80202004
	s_addc_u32 s33, 0, s33                                     // 000000006350: 82212180
	v_mfma_f32_16x16x32_fp8_fp8 v[12:15], a[78:79], a[14:15], v[12:15]// 000000006354: D3F3000C 1C321D4E
	v_fma_f32 v64, v8, v6, v64                                 // 00000000635C: D1CB0040 05020D08
	v_fma_f32 v65, v9, v6, v65                                 // 000000006364: D1CB0041 05060D09
	v_fma_f32 v66, v10, v6, v66                                // 00000000636C: D1CB0042 050A0D0A
	v_fma_f32 v67, v11, v6, v67                                // 000000006374: D1CB0043 050E0D0B
	v_fma_f32 v72, v12, v6, v72                                // 00000000637C: D1CB0048 05220D0C
	v_fma_f32 v73, v13, v6, v73                                // 000000006384: D1CB0049 05260D0D
	v_fma_f32 v74, v14, v6, v74                                // 00000000638C: D1CB004A 052A0D0E
	v_fma_f32 v75, v15, v6, v75                                // 000000006394: D1CB004B 052E0D0F
	s_addk_i32 s80, 0x80                                       // 00000000639C: B7500080
	s_cmp_lt_i32 s80, s81                                      // 0000000063A0: BF045150
	s_cbranch_scc0 label_10ED                                  // 0000000063A4: BF840280
	s_waitcnt vmcnt(11) lgkmcnt(0)                             // 0000000063A8: BF8C007B
	v_mul_f32_dpp v4, v24, v32 row_newbcast:0 row_mask:0xf bank_mask:0xf// 0000000063AC: 0A0840FA FF015018
	v_mfma_f32_16x16x32_fp8_fp8 v[8:11], a[32:33], a[16:17], 0 // 0000000063B4: D3F30008 1A022120
	buffer_load_dword v25, v22, s[32:35], 0 offen              // 0000000063BC: E0501000 80081916
	buffer_load_dwordx4 a[64:67], v42, s[24:27], 0 offen       // 0000000063C4: E05C1000 8086402A
	v_mfma_f32_16x16x32_fp8_fp8 v[8:11], a[34:35], a[18:19], v[8:11]// 0000000063CC: D3F30008 1C222522
	v_mfma_f32_16x16x32_fp8_fp8 v[8:11], a[36:37], a[20:21], v[8:11]// 0000000063D4: D3F30008 1C222924
	v_mfma_f32_16x16x32_fp8_fp8 v[8:11], a[38:39], a[22:23], v[8:11]// 0000000063DC: D3F30008 1C222D26
	v_mfma_f32_16x16x32_fp8_fp8 v[12:15], a[40:41], a[16:17], 0// 0000000063E4: D3F3000C 1A022128
	buffer_load_dwordx4 a[68:71], v42, s[24:27], 0 offen offset:1024// 0000000063EC: E05C1400 8086442A
	v_mfma_f32_16x16x32_fp8_fp8 v[12:15], a[42:43], a[18:19], v[12:15]// 0000000063F4: D3F3000C 1C32252A
	v_mfma_f32_16x16x32_fp8_fp8 v[12:15], a[44:45], a[20:21], v[12:15]// 0000000063FC: D3F3000C 1C32292C
	v_mfma_f32_16x16x32_fp8_fp8 v[12:15], a[46:47], a[22:23], v[12:15]// 000000006404: D3F3000C 1C322D2E
	v_fma_f32 v44, v8, v4, v44                                 // 00000000640C: D1CB002C 04B20908
	v_fma_f32 v45, v9, v4, v45                                 // 000000006414: D1CB002D 04B60909
	v_fma_f32 v46, v10, v4, v46                                // 00000000641C: D1CB002E 04BA090A
	v_fma_f32 v47, v11, v4, v47                                // 000000006424: D1CB002F 04BE090B
	v_mul_f32_dpp v6, v24, v33 row_newbcast:0 row_mask:0xf bank_mask:0xf// 00000000642C: 0A0C42FA FF015018
	v_mfma_f32_16x16x32_fp8_fp8 v[8:11], a[32:33], a[24:25], 0 // 000000006434: D3F30008 1A023120
	buffer_load_dwordx4 a[72:75], v43, s[24:27], 0 offen       // 00000000643C: E05C1000 8086482B
	v_mfma_f32_16x16x32_fp8_fp8 v[8:11], a[34:35], a[26:27], v[8:11]// 000000006444: D3F30008 1C223522
	v_mfma_f32_16x16x32_fp8_fp8 v[8:11], a[36:37], a[28:29], v[8:11]// 00000000644C: D3F30008 1C223924
	v_mfma_f32_16x16x32_fp8_fp8 v[8:11], a[38:39], a[30:31], v[8:11]// 000000006454: D3F30008 1C223D26
	v_fma_f32 v52, v12, v4, v52                                // 00000000645C: D1CB0034 04D2090C
	v_fma_f32 v53, v13, v4, v53                                // 000000006464: D1CB0035 04D6090D
	v_fma_f32 v54, v14, v4, v54                                // 00000000646C: D1CB0036 04DA090E
	v_fma_f32 v55, v15, v4, v55                                // 000000006474: D1CB0037 04DE090F
	v_mfma_f32_16x16x32_fp8_fp8 v[12:15], a[40:41], a[24:25], 0// 00000000647C: D3F3000C 1A023128
	buffer_load_dwordx4 a[76:79], v43, s[24:27], 0 offen offset:1024// 000000006484: E05C1400 80864C2B
	buffer_load_dword v38, s[20:23], 0 offen lds               // 00000000648C: E0511000 80050026
	s_add_u32 m0, 0x100, s50                                   // 000000006494: 807C32FF 00000100
	v_mfma_f32_16x16x32_fp8_fp8 v[12:15], a[42:43], a[26:27], v[12:15]// 00000000649C: D3F3000C 1C32352A
	v_mfma_f32_16x16x32_fp8_fp8 v[12:15], a[44:45], a[28:29], v[12:15]// 0000000064A4: D3F3000C 1C32392C
	buffer_load_dword v39, s[20:23], 0 offen lds               // 0000000064AC: E0511000 80050027
	s_add_u32 m0, 0x200, s50                                   // 0000000064B4: 807C32FF 00000200
	v_mfma_f32_16x16x32_fp8_fp8 v[12:15], a[46:47], a[30:31], v[12:15]// 0000000064BC: D3F3000C 1C323D2E
	v_fma_f32 v48, v8, v6, v48                                 // 0000000064C4: D1CB0030 04C20D08
	v_fma_f32 v49, v9, v6, v49                                 // 0000000064CC: D1CB0031 04C60D09
	v_fma_f32 v50, v10, v6, v50                                // 0000000064D4: D1CB0032 04CA0D0A
	v_fma_f32 v51, v11, v6, v51                                // 0000000064DC: D1CB0033 04CE0D0B
	v_fma_f32 v56, v12, v6, v56                                // 0000000064E4: D1CB0038 04E20D0C
	v_fma_f32 v57, v13, v6, v57                                // 0000000064EC: D1CB0039 04E60D0D
	v_fma_f32 v58, v14, v6, v58                                // 0000000064F4: D1CB003A 04EA0D0E
	v_fma_f32 v59, v15, v6, v59                                // 0000000064FC: D1CB003B 04EE0D0F
	buffer_load_dword v40, s[20:23], 0 offen lds               // 000000006504: E0511000 80050028
	s_add_u32 m0, 0x300, s50                                   // 00000000650C: 807C32FF 00000300
	buffer_load_dword v41, s[20:23], 0 offen lds               // 000000006514: E0511000 80050029
	s_add_u32 m0, 0, s48                                       // 00000000651C: 807C3080
	buffer_load_dword v36, v30, s[28:31], 0 offen              // 000000006520: E0501000 8007241E
	buffer_load_dword v37, v31, s[28:31], 0 offen              // 000000006528: E0501000 8007251F
	s_waitcnt vmcnt(11)                                        // 000000006530: BF8C0F7B
	s_barrier                                                  // 000000006534: BF8A0000
	v_mul_f32_dpp v4, v27, v32 row_newbcast:0 row_mask:0xf bank_mask:0xf// 000000006538: 0A0840FA FF01501B
	v_mfma_f32_16x16x32_fp8_fp8 v[8:11], a[48:49], a[16:17], 0 // 000000006540: D3F30008 1A022130
	buffer_load_dword v28, v23, s[32:35], 0 offen              // 000000006548: E0501000 80081C17
	buffer_load_dwordx4 a[32:35], v42, s[84:87], 0 offen       // 000000006550: E05C1000 8095202A
	v_mfma_f32_16x16x32_fp8_fp8 v[8:11], a[50:51], a[18:19], v[8:11]// 000000006558: D3F30008 1C222532
	v_mfma_f32_16x16x32_fp8_fp8 v[8:11], a[52:53], a[20:21], v[8:11]// 000000006560: D3F30008 1C222934
	ds_read_b128 a[0:3], v2 offset:4224                        // 000000006568: DBFE1080 00000002
	ds_read_b128 a[4:7], v2 offset:4288                        // 000000006570: DBFE10C0 04000002
	v_mfma_f32_16x16x32_fp8_fp8 v[8:11], a[54:55], a[22:23], v[8:11]// 000000006578: D3F30008 1C222D36
	v_mfma_f32_16x16x32_fp8_fp8 v[12:15], a[56:57], a[16:17], 0// 000000006580: D3F3000C 1A022138
	buffer_load_dwordx4 a[36:39], v42, s[84:87], 0 offen offset:1024// 000000006588: E05C1400 8095242A
	v_mfma_f32_16x16x32_fp8_fp8 v[12:15], a[58:59], a[18:19], v[12:15]// 000000006590: D3F3000C 1C32253A
	v_mfma_f32_16x16x32_fp8_fp8 v[12:15], a[60:61], a[20:21], v[12:15]// 000000006598: D3F3000C 1C32293C
	ds_read_b128 a[8:11], v2 offset:4736                       // 0000000065A0: DBFE1280 08000002
	ds_read_b128 a[12:15], v2 offset:4800                      // 0000000065A8: DBFE12C0 0C000002
	v_mfma_f32_16x16x32_fp8_fp8 v[12:15], a[62:63], a[22:23], v[12:15]// 0000000065B0: D3F3000C 1C322D3E
	v_fma_f32 v60, v8, v4, v60                                 // 0000000065B8: D1CB003C 04F20908
	v_fma_f32 v61, v9, v4, v61                                 // 0000000065C0: D1CB003D 04F60909
	v_fma_f32 v62, v10, v4, v62                                // 0000000065C8: D1CB003E 04FA090A
	v_fma_f32 v63, v11, v4, v63                                // 0000000065D0: D1CB003F 04FE090B
	v_mul_f32_dpp v6, v27, v33 row_newbcast:0 row_mask:0xf bank_mask:0xf// 0000000065D8: 0A0C42FA FF01501B
	v_mfma_f32_16x16x32_fp8_fp8 v[8:11], a[48:49], a[24:25], 0 // 0000000065E0: D3F30008 1A023130
	buffer_load_dwordx4 a[40:43], v43, s[84:87], 0 offen       // 0000000065E8: E05C1000 8095282B
	s_add_u32 s60, 0x180, s80                                  // 0000000065F0: 803C50FF 00000180
	s_cmp_lt_u32 s60, s81                                      // 0000000065F8: BF0A513C
	s_cselect_b32 s57, s57, 0                                  // 0000000065FC: 85398039
	s_cselect_b32 s3, s3, 0                                    // 000000006600: 85038003
	v_mfma_f32_16x16x32_fp8_fp8 v[8:11], a[50:51], a[26:27], v[8:11]// 000000006604: D3F30008 1C223532
	s_add_u32 s60, 0x100, s80                                  // 00000000660C: 803C50FF 00000100
	s_cmp_lt_u32 s60, s81                                      // 000000006614: BF0A513C
	s_cselect_b32 s58, s58, 0                                  // 000000006618: 853A803A
	v_mfma_f32_16x16x32_fp8_fp8 v[8:11], a[52:53], a[28:29], v[8:11]// 00000000661C: D3F30008 1C223934
	s_add_u32 s60, 0x100, s80                                  // 000000006624: 803C50FF 00000100
	s_cmp_lt_u32 s60, s81                                      // 00000000662C: BF0A513C
	s_cselect_b32 s83, s83, 0                                  // 000000006630: 85538053
	s_cselect_b32 s4, s4, 0                                    // 000000006634: 85048004
	v_mfma_f32_16x16x32_fp8_fp8 v[8:11], a[54:55], a[30:31], v[8:11]// 000000006638: D3F30008 1C223D36
	s_add_u32 s24, s58, s24                                    // 000000006640: 8018183A
	s_addc_u32 s25, 0, s25                                     // 000000006644: 82191980
	v_fma_f32 v68, v12, v4, v68                                // 000000006648: D1CB0044 0512090C
	v_fma_f32 v69, v13, v4, v69                                // 000000006650: D1CB0045 0516090D
	v_fma_f32 v70, v14, v4, v70                                // 000000006658: D1CB0046 051A090E
	v_fma_f32 v71, v15, v4, v71                                // 000000006660: D1CB0047 051E090F
	v_mfma_f32_16x16x32_fp8_fp8 v[12:15], a[56:57], a[24:25], 0// 000000006668: D3F3000C 1A023138
	buffer_load_dwordx4 a[44:47], v43, s[84:87], 0 offen offset:1024// 000000006670: E05C1400 80952C2B
	s_add_u32 s20, s57, s20                                    // 000000006678: 80141439
	s_addc_u32 s21, 0, s21                                     // 00000000667C: 82151580
	s_add_u32 s28, s3, s28                                     // 000000006680: 801C1C03
	s_addc_u32 s29, 0, s29                                     // 000000006684: 821D1D80
	v_mfma_f32_16x16x32_fp8_fp8 v[12:15], a[58:59], a[26:27], v[12:15]// 000000006688: D3F3000C 1C32353A
	s_add_u32 s84, s83, s84                                    // 000000006690: 80545453
	s_addc_u32 s85, 0, s85                                     // 000000006694: 82555580
	v_mfma_f32_16x16x32_fp8_fp8 v[12:15], a[60:61], a[28:29], v[12:15]// 000000006698: D3F3000C 1C32393C
	s_add_u32 s32, s4, s32                                     // 0000000066A0: 80202004
	s_addc_u32 s33, 0, s33                                     // 0000000066A4: 82212180
	v_mfma_f32_16x16x32_fp8_fp8 v[12:15], a[62:63], a[30:31], v[12:15]// 0000000066A8: D3F3000C 1C323D3E
	v_fma_f32 v64, v8, v6, v64                                 // 0000000066B0: D1CB0040 05020D08
	v_fma_f32 v65, v9, v6, v65                                 // 0000000066B8: D1CB0041 05060D09
	v_fma_f32 v66, v10, v6, v66                                // 0000000066C0: D1CB0042 050A0D0A
	v_fma_f32 v67, v11, v6, v67                                // 0000000066C8: D1CB0043 050E0D0B
	v_fma_f32 v72, v12, v6, v72                                // 0000000066D0: D1CB0048 05220D0C
	v_fma_f32 v73, v13, v6, v73                                // 0000000066D8: D1CB0049 05260D0D
	v_fma_f32 v74, v14, v6, v74                                // 0000000066E0: D1CB004A 052A0D0E
	v_fma_f32 v75, v15, v6, v75                                // 0000000066E8: D1CB004B 052E0D0F
	s_addk_i32 s80, 0x80                                       // 0000000066F0: B7500080
	s_cmp_lt_i32 s80, s81                                      // 0000000066F4: BF045150
	s_cbranch_scc0 label_10ED                                  // 0000000066F8: BF8401AB
	s_waitcnt vmcnt(11) lgkmcnt(0)                             // 0000000066FC: BF8C007B
	v_mul_f32_dpp v4, v25, v34 row_newbcast:0 row_mask:0xf bank_mask:0xf// 000000006700: 0A0844FA FF015019
	v_mfma_f32_16x16x32_fp8_fp8 v[8:11], a[64:65], a[0:1], 0   // 000000006708: D3F30008 1A020140
	buffer_load_dword v26, v22, s[32:35], 0 offen              // 000000006710: E0501000 80081A16
	buffer_load_dwordx4 a[48:51], v42, s[24:27], 0 offen       // 000000006718: E05C1000 8086302A
	v_mfma_f32_16x16x32_fp8_fp8 v[8:11], a[66:67], a[2:3], v[8:11]// 000000006720: D3F30008 1C220542
	v_mfma_f32_16x16x32_fp8_fp8 v[8:11], a[68:69], a[4:5], v[8:11]// 000000006728: D3F30008 1C220944
	v_mfma_f32_16x16x32_fp8_fp8 v[8:11], a[70:71], a[6:7], v[8:11]// 000000006730: D3F30008 1C220D46
	v_mfma_f32_16x16x32_fp8_fp8 v[12:15], a[72:73], a[0:1], 0  // 000000006738: D3F3000C 1A020148
	buffer_load_dwordx4 a[52:55], v42, s[24:27], 0 offen offset:1024// 000000006740: E05C1400 8086342A
	v_mfma_f32_16x16x32_fp8_fp8 v[12:15], a[74:75], a[2:3], v[12:15]// 000000006748: D3F3000C 1C32054A
	v_mfma_f32_16x16x32_fp8_fp8 v[12:15], a[76:77], a[4:5], v[12:15]// 000000006750: D3F3000C 1C32094C
	v_mfma_f32_16x16x32_fp8_fp8 v[12:15], a[78:79], a[6:7], v[12:15]// 000000006758: D3F3000C 1C320D4E
	v_fma_f32 v44, v8, v4, v44                                 // 000000006760: D1CB002C 04B20908
	v_fma_f32 v45, v9, v4, v45                                 // 000000006768: D1CB002D 04B60909
	v_fma_f32 v46, v10, v4, v46                                // 000000006770: D1CB002E 04BA090A
	v_fma_f32 v47, v11, v4, v47                                // 000000006778: D1CB002F 04BE090B
	v_mul_f32_dpp v6, v25, v35 row_newbcast:0 row_mask:0xf bank_mask:0xf// 000000006780: 0A0C46FA FF015019
	v_mfma_f32_16x16x32_fp8_fp8 v[8:11], a[64:65], a[8:9], 0   // 000000006788: D3F30008 1A021140
	buffer_load_dwordx4 a[56:59], v43, s[24:27], 0 offen       // 000000006790: E05C1000 8086382B
	v_mfma_f32_16x16x32_fp8_fp8 v[8:11], a[66:67], a[10:11], v[8:11]// 000000006798: D3F30008 1C221542
	v_mfma_f32_16x16x32_fp8_fp8 v[8:11], a[68:69], a[12:13], v[8:11]// 0000000067A0: D3F30008 1C221944
	v_mfma_f32_16x16x32_fp8_fp8 v[8:11], a[70:71], a[14:15], v[8:11]// 0000000067A8: D3F30008 1C221D46
	v_fma_f32 v52, v12, v4, v52                                // 0000000067B0: D1CB0034 04D2090C
	v_fma_f32 v53, v13, v4, v53                                // 0000000067B8: D1CB0035 04D6090D
	v_fma_f32 v54, v14, v4, v54                                // 0000000067C0: D1CB0036 04DA090E
	v_fma_f32 v55, v15, v4, v55                                // 0000000067C8: D1CB0037 04DE090F
	v_mfma_f32_16x16x32_fp8_fp8 v[12:15], a[72:73], a[8:9], 0  // 0000000067D0: D3F3000C 1A021148
	buffer_load_dwordx4 a[60:63], v43, s[24:27], 0 offen offset:1024// 0000000067D8: E05C1400 80863C2B
	buffer_load_dword v38, s[20:23], 0 offen lds               // 0000000067E0: E0511000 80050026
	s_add_u32 m0, 0x100, s48                                   // 0000000067E8: 807C30FF 00000100
	v_mfma_f32_16x16x32_fp8_fp8 v[12:15], a[74:75], a[10:11], v[12:15]// 0000000067F0: D3F3000C 1C32154A
	v_mfma_f32_16x16x32_fp8_fp8 v[12:15], a[76:77], a[12:13], v[12:15]// 0000000067F8: D3F3000C 1C32194C
	buffer_load_dword v39, s[20:23], 0 offen lds               // 000000006800: E0511000 80050027
	s_add_u32 m0, 0x200, s48                                   // 000000006808: 807C30FF 00000200
	v_mfma_f32_16x16x32_fp8_fp8 v[12:15], a[78:79], a[14:15], v[12:15]// 000000006810: D3F3000C 1C321D4E
	v_fma_f32 v48, v8, v6, v48                                 // 000000006818: D1CB0030 04C20D08
	v_fma_f32 v49, v9, v6, v49                                 // 000000006820: D1CB0031 04C60D09
	v_fma_f32 v50, v10, v6, v50                                // 000000006828: D1CB0032 04CA0D0A
	v_fma_f32 v51, v11, v6, v51                                // 000000006830: D1CB0033 04CE0D0B
	v_fma_f32 v56, v12, v6, v56                                // 000000006838: D1CB0038 04E20D0C
	v_fma_f32 v57, v13, v6, v57                                // 000000006840: D1CB0039 04E60D0D
	v_fma_f32 v58, v14, v6, v58                                // 000000006848: D1CB003A 04EA0D0E
	v_fma_f32 v59, v15, v6, v59                                // 000000006850: D1CB003B 04EE0D0F
	buffer_load_dword v40, s[20:23], 0 offen lds               // 000000006858: E0511000 80050028
	s_add_u32 m0, 0x300, s48                                   // 000000006860: 807C30FF 00000300
	buffer_load_dword v41, s[20:23], 0 offen lds               // 000000006868: E0511000 80050029
	s_add_u32 m0, 0, s49                                       // 000000006870: 807C3180
	buffer_load_dword v32, v30, s[28:31], 0 offen              // 000000006874: E0501000 8007201E
	buffer_load_dword v33, v31, s[28:31], 0 offen              // 00000000687C: E0501000 8007211F
	s_waitcnt vmcnt(11)                                        // 000000006884: BF8C0F7B
	s_barrier                                                  // 000000006888: BF8A0000
	v_mul_f32_dpp v4, v28, v34 row_newbcast:0 row_mask:0xf bank_mask:0xf// 00000000688C: 0A0844FA FF01501C
	v_mfma_f32_16x16x32_fp8_fp8 v[8:11], a[32:33], a[0:1], 0   // 000000006894: D3F30008 1A020120
	buffer_load_dword v29, v23, s[32:35], 0 offen              // 00000000689C: E0501000 80081D17
	buffer_load_dwordx4 a[64:67], v42, s[84:87], 0 offen       // 0000000068A4: E05C1000 8095402A
	v_mfma_f32_16x16x32_fp8_fp8 v[8:11], a[34:35], a[2:3], v[8:11]// 0000000068AC: D3F30008 1C220522
	v_mfma_f32_16x16x32_fp8_fp8 v[8:11], a[36:37], a[4:5], v[8:11]// 0000000068B4: D3F30008 1C220924
	ds_read_b128 a[16:19], v2 offset:8448                      // 0000000068BC: DBFE2100 10000002
	ds_read_b128 a[20:23], v2 offset:8512                      // 0000000068C4: DBFE2140 14000002
	v_mfma_f32_16x16x32_fp8_fp8 v[8:11], a[38:39], a[6:7], v[8:11]// 0000000068CC: D3F30008 1C220D26
	v_mfma_f32_16x16x32_fp8_fp8 v[12:15], a[40:41], a[0:1], 0  // 0000000068D4: D3F3000C 1A020128
	buffer_load_dwordx4 a[68:71], v42, s[84:87], 0 offen offset:1024// 0000000068DC: E05C1400 8095442A
	v_mfma_f32_16x16x32_fp8_fp8 v[12:15], a[42:43], a[2:3], v[12:15]// 0000000068E4: D3F3000C 1C32052A
	v_mfma_f32_16x16x32_fp8_fp8 v[12:15], a[44:45], a[4:5], v[12:15]// 0000000068EC: D3F3000C 1C32092C
	ds_read_b128 a[24:27], v2 offset:8960                      // 0000000068F4: DBFE2300 18000002
	ds_read_b128 a[28:31], v2 offset:9024                      // 0000000068FC: DBFE2340 1C000002
	v_mfma_f32_16x16x32_fp8_fp8 v[12:15], a[46:47], a[6:7], v[12:15]// 000000006904: D3F3000C 1C320D2E
	v_fma_f32 v60, v8, v4, v60                                 // 00000000690C: D1CB003C 04F20908
	v_fma_f32 v61, v9, v4, v61                                 // 000000006914: D1CB003D 04F60909
	v_fma_f32 v62, v10, v4, v62                                // 00000000691C: D1CB003E 04FA090A
	v_fma_f32 v63, v11, v4, v63                                // 000000006924: D1CB003F 04FE090B
	v_mul_f32_dpp v6, v28, v35 row_newbcast:0 row_mask:0xf bank_mask:0xf// 00000000692C: 0A0C46FA FF01501C
	v_mfma_f32_16x16x32_fp8_fp8 v[8:11], a[32:33], a[8:9], 0   // 000000006934: D3F30008 1A021120
	buffer_load_dwordx4 a[72:75], v43, s[84:87], 0 offen       // 00000000693C: E05C1000 8095482B
	s_add_u32 s60, 0x180, s80                                  // 000000006944: 803C50FF 00000180
	s_cmp_lt_u32 s60, s81                                      // 00000000694C: BF0A513C
	s_cselect_b32 s57, s57, 0                                  // 000000006950: 85398039
	s_cselect_b32 s3, s3, 0                                    // 000000006954: 85038003
	v_mfma_f32_16x16x32_fp8_fp8 v[8:11], a[34:35], a[10:11], v[8:11]// 000000006958: D3F30008 1C221522
	s_add_u32 s60, 0x100, s80                                  // 000000006960: 803C50FF 00000100
	s_cmp_lt_u32 s60, s81                                      // 000000006968: BF0A513C
	s_cselect_b32 s58, s58, 0                                  // 00000000696C: 853A803A
	v_mfma_f32_16x16x32_fp8_fp8 v[8:11], a[36:37], a[12:13], v[8:11]// 000000006970: D3F30008 1C221924
	s_add_u32 s60, 0x100, s80                                  // 000000006978: 803C50FF 00000100
	s_cmp_lt_u32 s60, s81                                      // 000000006980: BF0A513C
	s_cselect_b32 s83, s83, 0                                  // 000000006984: 85538053
	s_cselect_b32 s4, s4, 0                                    // 000000006988: 85048004
	v_mfma_f32_16x16x32_fp8_fp8 v[8:11], a[38:39], a[14:15], v[8:11]// 00000000698C: D3F30008 1C221D26
	s_add_u32 s24, s58, s24                                    // 000000006994: 8018183A
	s_addc_u32 s25, 0, s25                                     // 000000006998: 82191980
	v_fma_f32 v68, v12, v4, v68                                // 00000000699C: D1CB0044 0512090C
	v_fma_f32 v69, v13, v4, v69                                // 0000000069A4: D1CB0045 0516090D
	v_fma_f32 v70, v14, v4, v70                                // 0000000069AC: D1CB0046 051A090E
	v_fma_f32 v71, v15, v4, v71                                // 0000000069B4: D1CB0047 051E090F
	v_mfma_f32_16x16x32_fp8_fp8 v[12:15], a[40:41], a[8:9], 0  // 0000000069BC: D3F3000C 1A021128
	buffer_load_dwordx4 a[76:79], v43, s[84:87], 0 offen offset:1024// 0000000069C4: E05C1400 80954C2B
	s_add_u32 s20, s57, s20                                    // 0000000069CC: 80141439
	s_addc_u32 s21, 0, s21                                     // 0000000069D0: 82151580
	s_add_u32 s28, s3, s28                                     // 0000000069D4: 801C1C03
	s_addc_u32 s29, 0, s29                                     // 0000000069D8: 821D1D80
	v_mfma_f32_16x16x32_fp8_fp8 v[12:15], a[42:43], a[10:11], v[12:15]// 0000000069DC: D3F3000C 1C32152A
	s_add_u32 s84, s83, s84                                    // 0000000069E4: 80545453
	s_addc_u32 s85, 0, s85                                     // 0000000069E8: 82555580
	v_mfma_f32_16x16x32_fp8_fp8 v[12:15], a[44:45], a[12:13], v[12:15]// 0000000069EC: D3F3000C 1C32192C
	s_add_u32 s32, s4, s32                                     // 0000000069F4: 80202004
	s_addc_u32 s33, 0, s33                                     // 0000000069F8: 82212180
	v_mfma_f32_16x16x32_fp8_fp8 v[12:15], a[46:47], a[14:15], v[12:15]// 0000000069FC: D3F3000C 1C321D2E
	v_fma_f32 v64, v8, v6, v64                                 // 000000006A04: D1CB0040 05020D08
	v_fma_f32 v65, v9, v6, v65                                 // 000000006A0C: D1CB0041 05060D09
	v_fma_f32 v66, v10, v6, v66                                // 000000006A14: D1CB0042 050A0D0A
	v_fma_f32 v67, v11, v6, v67                                // 000000006A1C: D1CB0043 050E0D0B
	v_fma_f32 v72, v12, v6, v72                                // 000000006A24: D1CB0048 05220D0C
	v_fma_f32 v73, v13, v6, v73                                // 000000006A2C: D1CB0049 05260D0D
	v_fma_f32 v74, v14, v6, v74                                // 000000006A34: D1CB004A 052A0D0E
	v_fma_f32 v75, v15, v6, v75                                // 000000006A3C: D1CB004B 052E0D0F
	s_addk_i32 s80, 0x80                                       // 000000006A44: B7500080
	s_cmp_lt_i32 s80, s81                                      // 000000006A48: BF045150
	s_cbranch_scc0 label_10ED                                  // 000000006A4C: BF8400D6
	s_waitcnt vmcnt(11) lgkmcnt(0)                             // 000000006A50: BF8C007B
	v_mul_f32_dpp v4, v26, v36 row_newbcast:0 row_mask:0xf bank_mask:0xf// 000000006A54: 0A0848FA FF01501A
	v_mfma_f32_16x16x32_fp8_fp8 v[8:11], a[48:49], a[16:17], 0 // 000000006A5C: D3F30008 1A022130
	buffer_load_dword v24, v22, s[32:35], 0 offen              // 000000006A64: E0501000 80081816
	buffer_load_dwordx4 a[32:35], v42, s[24:27], 0 offen       // 000000006A6C: E05C1000 8086202A
	v_mfma_f32_16x16x32_fp8_fp8 v[8:11], a[50:51], a[18:19], v[8:11]// 000000006A74: D3F30008 1C222532
	v_mfma_f32_16x16x32_fp8_fp8 v[8:11], a[52:53], a[20:21], v[8:11]// 000000006A7C: D3F30008 1C222934
	v_mfma_f32_16x16x32_fp8_fp8 v[8:11], a[54:55], a[22:23], v[8:11]// 000000006A84: D3F30008 1C222D36
	v_mfma_f32_16x16x32_fp8_fp8 v[12:15], a[56:57], a[16:17], 0// 000000006A8C: D3F3000C 1A022138
	buffer_load_dwordx4 a[36:39], v42, s[24:27], 0 offen offset:1024// 000000006A94: E05C1400 8086242A
	v_mfma_f32_16x16x32_fp8_fp8 v[12:15], a[58:59], a[18:19], v[12:15]// 000000006A9C: D3F3000C 1C32253A
	v_mfma_f32_16x16x32_fp8_fp8 v[12:15], a[60:61], a[20:21], v[12:15]// 000000006AA4: D3F3000C 1C32293C
	v_mfma_f32_16x16x32_fp8_fp8 v[12:15], a[62:63], a[22:23], v[12:15]// 000000006AAC: D3F3000C 1C322D3E
	v_fma_f32 v44, v8, v4, v44                                 // 000000006AB4: D1CB002C 04B20908
	v_fma_f32 v45, v9, v4, v45                                 // 000000006ABC: D1CB002D 04B60909
	v_fma_f32 v46, v10, v4, v46                                // 000000006AC4: D1CB002E 04BA090A
	v_fma_f32 v47, v11, v4, v47                                // 000000006ACC: D1CB002F 04BE090B
	v_mul_f32_dpp v6, v26, v37 row_newbcast:0 row_mask:0xf bank_mask:0xf// 000000006AD4: 0A0C4AFA FF01501A
	v_mfma_f32_16x16x32_fp8_fp8 v[8:11], a[48:49], a[24:25], 0 // 000000006ADC: D3F30008 1A023130
	buffer_load_dwordx4 a[40:43], v43, s[24:27], 0 offen       // 000000006AE4: E05C1000 8086282B
	v_mfma_f32_16x16x32_fp8_fp8 v[8:11], a[50:51], a[26:27], v[8:11]// 000000006AEC: D3F30008 1C223532
	v_mfma_f32_16x16x32_fp8_fp8 v[8:11], a[52:53], a[28:29], v[8:11]// 000000006AF4: D3F30008 1C223934
	v_mfma_f32_16x16x32_fp8_fp8 v[8:11], a[54:55], a[30:31], v[8:11]// 000000006AFC: D3F30008 1C223D36
	v_fma_f32 v52, v12, v4, v52                                // 000000006B04: D1CB0034 04D2090C
	v_fma_f32 v53, v13, v4, v53                                // 000000006B0C: D1CB0035 04D6090D
	v_fma_f32 v54, v14, v4, v54                                // 000000006B14: D1CB0036 04DA090E
	v_fma_f32 v55, v15, v4, v55                                // 000000006B1C: D1CB0037 04DE090F
	v_mfma_f32_16x16x32_fp8_fp8 v[12:15], a[56:57], a[24:25], 0// 000000006B24: D3F3000C 1A023138
	buffer_load_dwordx4 a[44:47], v43, s[24:27], 0 offen offset:1024// 000000006B2C: E05C1400 80862C2B
	buffer_load_dword v38, s[20:23], 0 offen lds               // 000000006B34: E0511000 80050026
	s_add_u32 m0, 0x100, s49                                   // 000000006B3C: 807C31FF 00000100
	v_mfma_f32_16x16x32_fp8_fp8 v[12:15], a[58:59], a[26:27], v[12:15]// 000000006B44: D3F3000C 1C32353A
	v_mfma_f32_16x16x32_fp8_fp8 v[12:15], a[60:61], a[28:29], v[12:15]// 000000006B4C: D3F3000C 1C32393C
	buffer_load_dword v39, s[20:23], 0 offen lds               // 000000006B54: E0511000 80050027
	s_add_u32 m0, 0x200, s49                                   // 000000006B5C: 807C31FF 00000200
	v_mfma_f32_16x16x32_fp8_fp8 v[12:15], a[62:63], a[30:31], v[12:15]// 000000006B64: D3F3000C 1C323D3E
	v_fma_f32 v48, v8, v6, v48                                 // 000000006B6C: D1CB0030 04C20D08
	v_fma_f32 v49, v9, v6, v49                                 // 000000006B74: D1CB0031 04C60D09
	v_fma_f32 v50, v10, v6, v50                                // 000000006B7C: D1CB0032 04CA0D0A
	v_fma_f32 v51, v11, v6, v51                                // 000000006B84: D1CB0033 04CE0D0B
	v_fma_f32 v56, v12, v6, v56                                // 000000006B8C: D1CB0038 04E20D0C
	v_fma_f32 v57, v13, v6, v57                                // 000000006B94: D1CB0039 04E60D0D
	v_fma_f32 v58, v14, v6, v58                                // 000000006B9C: D1CB003A 04EA0D0E
	v_fma_f32 v59, v15, v6, v59                                // 000000006BA4: D1CB003B 04EE0D0F
	buffer_load_dword v40, s[20:23], 0 offen lds               // 000000006BAC: E0511000 80050028
	s_add_u32 m0, 0x300, s49                                   // 000000006BB4: 807C31FF 00000300
	buffer_load_dword v41, s[20:23], 0 offen lds               // 000000006BBC: E0511000 80050029
	s_add_u32 m0, 0, s50                                       // 000000006BC4: 807C3280
	buffer_load_dword v34, v30, s[28:31], 0 offen              // 000000006BC8: E0501000 8007221E
	buffer_load_dword v35, v31, s[28:31], 0 offen              // 000000006BD0: E0501000 8007231F
	s_waitcnt vmcnt(11)                                        // 000000006BD8: BF8C0F7B
	s_barrier                                                  // 000000006BDC: BF8A0000
	v_mul_f32_dpp v4, v29, v36 row_newbcast:0 row_mask:0xf bank_mask:0xf// 000000006BE0: 0A0848FA FF01501D
	v_mfma_f32_16x16x32_fp8_fp8 v[8:11], a[64:65], a[16:17], 0 // 000000006BE8: D3F30008 1A022140
	buffer_load_dword v27, v23, s[32:35], 0 offen              // 000000006BF0: E0501000 80081B17
	buffer_load_dwordx4 a[48:51], v42, s[84:87], 0 offen       // 000000006BF8: E05C1000 8095302A
	v_mfma_f32_16x16x32_fp8_fp8 v[8:11], a[66:67], a[18:19], v[8:11]// 000000006C00: D3F30008 1C222542
	v_mfma_f32_16x16x32_fp8_fp8 v[8:11], a[68:69], a[20:21], v[8:11]// 000000006C08: D3F30008 1C222944
	ds_read_b128 a[0:3], v2                                    // 000000006C10: DBFE0000 00000002
	ds_read_b128 a[4:7], v2 offset:64                          // 000000006C18: DBFE0040 04000002
	v_mfma_f32_16x16x32_fp8_fp8 v[8:11], a[70:71], a[22:23], v[8:11]// 000000006C20: D3F30008 1C222D46
	v_mfma_f32_16x16x32_fp8_fp8 v[12:15], a[72:73], a[16:17], 0// 000000006C28: D3F3000C 1A022148
	buffer_load_dwordx4 a[52:55], v42, s[84:87], 0 offen offset:1024// 000000006C30: E05C1400 8095342A
	v_mfma_f32_16x16x32_fp8_fp8 v[12:15], a[74:75], a[18:19], v[12:15]// 000000006C38: D3F3000C 1C32254A
	v_mfma_f32_16x16x32_fp8_fp8 v[12:15], a[76:77], a[20:21], v[12:15]// 000000006C40: D3F3000C 1C32294C
	ds_read_b128 a[8:11], v2 offset:512                        // 000000006C48: DBFE0200 08000002
	ds_read_b128 a[12:15], v2 offset:576                       // 000000006C50: DBFE0240 0C000002
	v_mfma_f32_16x16x32_fp8_fp8 v[12:15], a[78:79], a[22:23], v[12:15]// 000000006C58: D3F3000C 1C322D4E
	v_fma_f32 v60, v8, v4, v60                                 // 000000006C60: D1CB003C 04F20908
	v_fma_f32 v61, v9, v4, v61                                 // 000000006C68: D1CB003D 04F60909
	v_fma_f32 v62, v10, v4, v62                                // 000000006C70: D1CB003E 04FA090A
	v_fma_f32 v63, v11, v4, v63                                // 000000006C78: D1CB003F 04FE090B
	v_mul_f32_dpp v6, v29, v37 row_newbcast:0 row_mask:0xf bank_mask:0xf// 000000006C80: 0A0C4AFA FF01501D
	v_mfma_f32_16x16x32_fp8_fp8 v[8:11], a[64:65], a[24:25], 0 // 000000006C88: D3F30008 1A023140
	buffer_load_dwordx4 a[56:59], v43, s[84:87], 0 offen       // 000000006C90: E05C1000 8095382B
	s_add_u32 s60, 0x180, s80                                  // 000000006C98: 803C50FF 00000180
	s_cmp_lt_u32 s60, s81                                      // 000000006CA0: BF0A513C
	s_cselect_b32 s57, s57, 0                                  // 000000006CA4: 85398039
	s_cselect_b32 s3, s3, 0                                    // 000000006CA8: 85038003
	v_mfma_f32_16x16x32_fp8_fp8 v[8:11], a[66:67], a[26:27], v[8:11]// 000000006CAC: D3F30008 1C223542
	s_add_u32 s60, 0x100, s80                                  // 000000006CB4: 803C50FF 00000100
	s_cmp_lt_u32 s60, s81                                      // 000000006CBC: BF0A513C
	s_cselect_b32 s58, s58, 0                                  // 000000006CC0: 853A803A
	v_mfma_f32_16x16x32_fp8_fp8 v[8:11], a[68:69], a[28:29], v[8:11]// 000000006CC4: D3F30008 1C223944
	s_add_u32 s60, 0x100, s80                                  // 000000006CCC: 803C50FF 00000100
	s_cmp_lt_u32 s60, s81                                      // 000000006CD4: BF0A513C
	s_cselect_b32 s83, s83, 0                                  // 000000006CD8: 85538053
	s_cselect_b32 s4, s4, 0                                    // 000000006CDC: 85048004
	v_mfma_f32_16x16x32_fp8_fp8 v[8:11], a[70:71], a[30:31], v[8:11]// 000000006CE0: D3F30008 1C223D46
	s_add_u32 s24, s58, s24                                    // 000000006CE8: 8018183A
	s_addc_u32 s25, 0, s25                                     // 000000006CEC: 82191980
	v_fma_f32 v68, v12, v4, v68                                // 000000006CF0: D1CB0044 0512090C
	v_fma_f32 v69, v13, v4, v69                                // 000000006CF8: D1CB0045 0516090D
	v_fma_f32 v70, v14, v4, v70                                // 000000006D00: D1CB0046 051A090E
	v_fma_f32 v71, v15, v4, v71                                // 000000006D08: D1CB0047 051E090F
	v_mfma_f32_16x16x32_fp8_fp8 v[12:15], a[72:73], a[24:25], 0// 000000006D10: D3F3000C 1A023148
	buffer_load_dwordx4 a[60:63], v43, s[84:87], 0 offen offset:1024// 000000006D18: E05C1400 80953C2B
	s_add_u32 s20, s57, s20                                    // 000000006D20: 80141439
	s_addc_u32 s21, 0, s21                                     // 000000006D24: 82151580
	s_add_u32 s28, s3, s28                                     // 000000006D28: 801C1C03
	s_addc_u32 s29, 0, s29                                     // 000000006D2C: 821D1D80
	v_mfma_f32_16x16x32_fp8_fp8 v[12:15], a[74:75], a[26:27], v[12:15]// 000000006D30: D3F3000C 1C32354A
	s_add_u32 s84, s83, s84                                    // 000000006D38: 80545453
	s_addc_u32 s85, 0, s85                                     // 000000006D3C: 82555580
	v_mfma_f32_16x16x32_fp8_fp8 v[12:15], a[76:77], a[28:29], v[12:15]// 000000006D40: D3F3000C 1C32394C
	s_add_u32 s32, s4, s32                                     // 000000006D48: 80202004
	s_addc_u32 s33, 0, s33                                     // 000000006D4C: 82212180
	v_mfma_f32_16x16x32_fp8_fp8 v[12:15], a[78:79], a[30:31], v[12:15]// 000000006D50: D3F3000C 1C323D4E
	v_fma_f32 v64, v8, v6, v64                                 // 000000006D58: D1CB0040 05020D08
	v_fma_f32 v65, v9, v6, v65                                 // 000000006D60: D1CB0041 05060D09
	v_fma_f32 v66, v10, v6, v66                                // 000000006D68: D1CB0042 050A0D0A
	v_fma_f32 v67, v11, v6, v67                                // 000000006D70: D1CB0043 050E0D0B
	v_fma_f32 v72, v12, v6, v72                                // 000000006D78: D1CB0048 05220D0C
	v_fma_f32 v73, v13, v6, v73                                // 000000006D80: D1CB0049 05260D0D
	v_fma_f32 v74, v14, v6, v74                                // 000000006D88: D1CB004A 052A0D0E
	v_fma_f32 v75, v15, v6, v75                                // 000000006D90: D1CB004B 052E0D0F
	s_addk_i32 s80, 0x80                                       // 000000006D98: B7500080
	s_cmp_lt_i32 s80, s81                                      // 000000006D9C: BF045150
	s_cbranch_scc0 label_10ED                                  // 000000006DA0: BF840001
	s_branch label_0BEE                                        // 000000006DA4: BF82FB01

0000000000006da8 <label_10ED>:
	s_cmp_eq_u32 s88, 0                                        // 000000006DA8: BF068058
	s_cbranch_scc0 label_13D4                                  // 000000006DAC: BF8402E5
	s_cmp_eq_u32 s89, 0                                        // 000000006DB0: BF068059
	s_cbranch_scc1 label_1196                                  // 000000006DB4: BF8500A5
	v_mov_b32_e32 v8, v1                                       // 000000006DB8: 7E100301
	v_mov_b32_e32 v9, v1                                       // 000000006DBC: 7E120301
	s_mov_b32 s60, s6                                          // 000000006DC0: BEBC0006
	s_mov_b32 s61, s6                                          // 000000006DC4: BEBD0006
	v_pk_mul_f32 v[4:5], v[44:45], v[44:45]                    // 000000006DC8: D3B14004 1802592C
	v_pk_mul_f32 v[6:7], v[46:47], v[46:47]                    // 000000006DD0: D3B14006 18025D2E
	v_pk_fma_f32 v[4:5], v[4:5], s[78:79], v[8:9]              // 000000006DD8: D3B04004 1C209D04
	v_pk_fma_f32 v[6:7], v[6:7], s[78:79], v[8:9]              // 000000006DE0: D3B04006 1C209D06
	v_pk_mul_f32 v[4:5], v[4:5], v[44:45]                      // 000000006DE8: D3B14004 18025904
	v_pk_mul_f32 v[6:7], v[6:7], v[46:47]                      // 000000006DF0: D3B14006 18025D06
	v_pk_mul_f32 v[4:5], v[4:5], s[60:61]                      // 000000006DF8: D3B14004 18007904
	v_pk_mul_f32 v[6:7], v[6:7], s[60:61]                      // 000000006E00: D3B14006 18007906
	v_exp_f32_e32 v4, v4                                       // 000000006E08: 7E084104
	v_exp_f32_e32 v5, v5                                       // 000000006E0C: 7E0A4105
	v_exp_f32_e32 v6, v6                                       // 000000006E10: 7E0C4106
	v_exp_f32_e32 v7, v7                                       // 000000006E14: 7E0E4107
	v_add_f32_e64 v4, v4, 1.0                                  // 000000006E18: D1010004 0001E504
	v_add_f32_e64 v5, v5, 1.0                                  // 000000006E20: D1010005 0001E505
	v_add_f32_e64 v6, v6, 1.0                                  // 000000006E28: D1010006 0001E506
	v_add_f32_e64 v7, v7, 1.0                                  // 000000006E30: D1010007 0001E507
	v_rcp_f32_e32 v4, v4                                       // 000000006E38: 7E084504
	v_rcp_f32_e32 v5, v5                                       // 000000006E3C: 7E0A4505
	v_rcp_f32_e32 v6, v6                                       // 000000006E40: 7E0C4506
	v_rcp_f32_e32 v7, v7                                       // 000000006E44: 7E0E4507
	v_mul_f32_e32 v44, v44, v4                                 // 000000006E48: 0A58092C
	v_mul_f32_e32 v45, v45, v5                                 // 000000006E4C: 0A5A0B2D
	v_mul_f32_e32 v46, v46, v6                                 // 000000006E50: 0A5C0D2E
	v_mul_f32_e32 v47, v47, v7                                 // 000000006E54: 0A5E0F2F
	v_mul_f32_e32 v44, v44, v60                                // 000000006E58: 0A58792C
	v_mul_f32_e32 v45, v45, v61                                // 000000006E5C: 0A5A7B2D
	v_mul_f32_e32 v46, v46, v62                                // 000000006E60: 0A5C7D2E
	v_mul_f32_e32 v47, v47, v63                                // 000000006E64: 0A5E7F2F
	v_pk_mul_f32 v[4:5], v[48:49], v[48:49]                    // 000000006E68: D3B14004 18026130
	v_pk_mul_f32 v[6:7], v[50:51], v[50:51]                    // 000000006E70: D3B14006 18026532
	v_pk_fma_f32 v[4:5], v[4:5], s[78:79], v[8:9]              // 000000006E78: D3B04004 1C209D04
	v_pk_fma_f32 v[6:7], v[6:7], s[78:79], v[8:9]              // 000000006E80: D3B04006 1C209D06
	v_pk_mul_f32 v[4:5], v[4:5], v[48:49]                      // 000000006E88: D3B14004 18026104
	v_pk_mul_f32 v[6:7], v[6:7], v[50:51]                      // 000000006E90: D3B14006 18026506
	v_pk_mul_f32 v[4:5], v[4:5], s[60:61]                      // 000000006E98: D3B14004 18007904
	v_pk_mul_f32 v[6:7], v[6:7], s[60:61]                      // 000000006EA0: D3B14006 18007906
	v_exp_f32_e32 v4, v4                                       // 000000006EA8: 7E084104
	v_exp_f32_e32 v5, v5                                       // 000000006EAC: 7E0A4105
	v_exp_f32_e32 v6, v6                                       // 000000006EB0: 7E0C4106
	v_exp_f32_e32 v7, v7                                       // 000000006EB4: 7E0E4107
	v_add_f32_e64 v4, v4, 1.0                                  // 000000006EB8: D1010004 0001E504
	v_add_f32_e64 v5, v5, 1.0                                  // 000000006EC0: D1010005 0001E505
	v_add_f32_e64 v6, v6, 1.0                                  // 000000006EC8: D1010006 0001E506
	v_add_f32_e64 v7, v7, 1.0                                  // 000000006ED0: D1010007 0001E507
	v_rcp_f32_e32 v4, v4                                       // 000000006ED8: 7E084504
	v_rcp_f32_e32 v5, v5                                       // 000000006EDC: 7E0A4505
	v_rcp_f32_e32 v6, v6                                       // 000000006EE0: 7E0C4506
	v_rcp_f32_e32 v7, v7                                       // 000000006EE4: 7E0E4507
	v_mul_f32_e32 v48, v48, v4                                 // 000000006EE8: 0A600930
	v_mul_f32_e32 v49, v49, v5                                 // 000000006EEC: 0A620B31
	v_mul_f32_e32 v50, v50, v6                                 // 000000006EF0: 0A640D32
	v_mul_f32_e32 v51, v51, v7                                 // 000000006EF4: 0A660F33
	v_mul_f32_e32 v48, v48, v64                                // 000000006EF8: 0A608130
	v_mul_f32_e32 v49, v49, v65                                // 000000006EFC: 0A628331
	v_mul_f32_e32 v50, v50, v66                                // 000000006F00: 0A648532
	v_mul_f32_e32 v51, v51, v67                                // 000000006F04: 0A668733
	v_pk_mul_f32 v[4:5], v[52:53], v[52:53]                    // 000000006F08: D3B14004 18026934
	v_pk_mul_f32 v[6:7], v[54:55], v[54:55]                    // 000000006F10: D3B14006 18026D36
	v_pk_fma_f32 v[4:5], v[4:5], s[78:79], v[8:9]              // 000000006F18: D3B04004 1C209D04
	v_pk_fma_f32 v[6:7], v[6:7], s[78:79], v[8:9]              // 000000006F20: D3B04006 1C209D06
	v_pk_mul_f32 v[4:5], v[4:5], v[52:53]                      // 000000006F28: D3B14004 18026904
	v_pk_mul_f32 v[6:7], v[6:7], v[54:55]                      // 000000006F30: D3B14006 18026D06
	v_pk_mul_f32 v[4:5], v[4:5], s[60:61]                      // 000000006F38: D3B14004 18007904
	v_pk_mul_f32 v[6:7], v[6:7], s[60:61]                      // 000000006F40: D3B14006 18007906
	v_exp_f32_e32 v4, v4                                       // 000000006F48: 7E084104
	v_exp_f32_e32 v5, v5                                       // 000000006F4C: 7E0A4105
	v_exp_f32_e32 v6, v6                                       // 000000006F50: 7E0C4106
	v_exp_f32_e32 v7, v7                                       // 000000006F54: 7E0E4107
	v_add_f32_e64 v4, v4, 1.0                                  // 000000006F58: D1010004 0001E504
	v_add_f32_e64 v5, v5, 1.0                                  // 000000006F60: D1010005 0001E505
	v_add_f32_e64 v6, v6, 1.0                                  // 000000006F68: D1010006 0001E506
	v_add_f32_e64 v7, v7, 1.0                                  // 000000006F70: D1010007 0001E507
	v_rcp_f32_e32 v4, v4                                       // 000000006F78: 7E084504
	v_rcp_f32_e32 v5, v5                                       // 000000006F7C: 7E0A4505
	v_rcp_f32_e32 v6, v6                                       // 000000006F80: 7E0C4506
	v_rcp_f32_e32 v7, v7                                       // 000000006F84: 7E0E4507
	v_mul_f32_e32 v52, v52, v4                                 // 000000006F88: 0A680934
	v_mul_f32_e32 v53, v53, v5                                 // 000000006F8C: 0A6A0B35
	v_mul_f32_e32 v54, v54, v6                                 // 000000006F90: 0A6C0D36
	v_mul_f32_e32 v55, v55, v7                                 // 000000006F94: 0A6E0F37
	v_mul_f32_e32 v52, v52, v68                                // 000000006F98: 0A688934
	v_mul_f32_e32 v53, v53, v69                                // 000000006F9C: 0A6A8B35
	v_mul_f32_e32 v54, v54, v70                                // 000000006FA0: 0A6C8D36
	v_mul_f32_e32 v55, v55, v71                                // 000000006FA4: 0A6E8F37
	v_pk_mul_f32 v[4:5], v[56:57], v[56:57]                    // 000000006FA8: D3B14004 18027138
	v_pk_mul_f32 v[6:7], v[58:59], v[58:59]                    // 000000006FB0: D3B14006 1802753A
	v_pk_fma_f32 v[4:5], v[4:5], s[78:79], v[8:9]              // 000000006FB8: D3B04004 1C209D04
	v_pk_fma_f32 v[6:7], v[6:7], s[78:79], v[8:9]              // 000000006FC0: D3B04006 1C209D06
	v_pk_mul_f32 v[4:5], v[4:5], v[56:57]                      // 000000006FC8: D3B14004 18027104
	v_pk_mul_f32 v[6:7], v[6:7], v[58:59]                      // 000000006FD0: D3B14006 18027506
	v_pk_mul_f32 v[4:5], v[4:5], s[60:61]                      // 000000006FD8: D3B14004 18007904
	v_pk_mul_f32 v[6:7], v[6:7], s[60:61]                      // 000000006FE0: D3B14006 18007906
	v_exp_f32_e32 v4, v4                                       // 000000006FE8: 7E084104
	v_exp_f32_e32 v5, v5                                       // 000000006FEC: 7E0A4105
	v_exp_f32_e32 v6, v6                                       // 000000006FF0: 7E0C4106
	v_exp_f32_e32 v7, v7                                       // 000000006FF4: 7E0E4107
	v_add_f32_e64 v4, v4, 1.0                                  // 000000006FF8: D1010004 0001E504
	v_add_f32_e64 v5, v5, 1.0                                  // 000000007000: D1010005 0001E505
	v_add_f32_e64 v6, v6, 1.0                                  // 000000007008: D1010006 0001E506
	v_add_f32_e64 v7, v7, 1.0                                  // 000000007010: D1010007 0001E507
	v_rcp_f32_e32 v4, v4                                       // 000000007018: 7E084504
	v_rcp_f32_e32 v5, v5                                       // 00000000701C: 7E0A4505
	v_rcp_f32_e32 v6, v6                                       // 000000007020: 7E0C4506
	v_rcp_f32_e32 v7, v7                                       // 000000007024: 7E0E4507
	v_mul_f32_e32 v56, v56, v4                                 // 000000007028: 0A700938
	v_mul_f32_e32 v57, v57, v5                                 // 00000000702C: 0A720B39
	v_mul_f32_e32 v58, v58, v6                                 // 000000007030: 0A740D3A
	v_mul_f32_e32 v59, v59, v7                                 // 000000007034: 0A760F3B
	v_mul_f32_e32 v56, v56, v72                                // 000000007038: 0A709138
	v_mul_f32_e32 v57, v57, v73                                // 00000000703C: 0A729339
	v_mul_f32_e32 v58, v58, v74                                // 000000007040: 0A74953A
	v_mul_f32_e32 v59, v59, v75                                // 000000007044: 0A76973B
	s_branch label_1216                                        // 000000007048: BF820080

000000000000704c <label_1196>:
	v_mul_f32_e64 v4, -v44, s6                                 // 00000000704C: D1050004 20000D2C
	v_mul_f32_e64 v5, -v45, s6                                 // 000000007054: D1050005 20000D2D
	v_mul_f32_e64 v6, -v46, s6                                 // 00000000705C: D1050006 20000D2E
	v_mul_f32_e64 v7, -v47, s6                                 // 000000007064: D1050007 20000D2F
	v_exp_f32_e32 v4, v4                                       // 00000000706C: 7E084104
	v_exp_f32_e32 v5, v5                                       // 000000007070: 7E0A4105
	v_exp_f32_e32 v6, v6                                       // 000000007074: 7E0C4106
	v_exp_f32_e32 v7, v7                                       // 000000007078: 7E0E4107
	v_add_f32_e64 v4, v4, 1.0                                  // 00000000707C: D1010004 0001E504
	v_add_f32_e64 v5, v5, 1.0                                  // 000000007084: D1010005 0001E505
	v_add_f32_e64 v6, v6, 1.0                                  // 00000000708C: D1010006 0001E506
	v_add_f32_e64 v7, v7, 1.0                                  // 000000007094: D1010007 0001E507
	v_rcp_f32_e32 v4, v4                                       // 00000000709C: 7E084504
	v_rcp_f32_e32 v5, v5                                       // 0000000070A0: 7E0A4505
	v_rcp_f32_e32 v6, v6                                       // 0000000070A4: 7E0C4506
	v_rcp_f32_e32 v7, v7                                       // 0000000070A8: 7E0E4507
	v_mul_f32_e32 v44, v44, v4                                 // 0000000070AC: 0A58092C
	v_mul_f32_e32 v45, v45, v5                                 // 0000000070B0: 0A5A0B2D
	v_mul_f32_e32 v46, v46, v6                                 // 0000000070B4: 0A5C0D2E
	v_mul_f32_e32 v47, v47, v7                                 // 0000000070B8: 0A5E0F2F
	v_mul_f32_e32 v44, v44, v60                                // 0000000070BC: 0A58792C
	v_mul_f32_e32 v45, v45, v61                                // 0000000070C0: 0A5A7B2D
	v_mul_f32_e32 v46, v46, v62                                // 0000000070C4: 0A5C7D2E
	v_mul_f32_e32 v47, v47, v63                                // 0000000070C8: 0A5E7F2F
	v_mul_f32_e64 v4, -v48, s6                                 // 0000000070CC: D1050004 20000D30
	v_mul_f32_e64 v5, -v49, s6                                 // 0000000070D4: D1050005 20000D31
	v_mul_f32_e64 v6, -v50, s6                                 // 0000000070DC: D1050006 20000D32
	v_mul_f32_e64 v7, -v51, s6                                 // 0000000070E4: D1050007 20000D33
	v_exp_f32_e32 v4, v4                                       // 0000000070EC: 7E084104
	v_exp_f32_e32 v5, v5                                       // 0000000070F0: 7E0A4105
	v_exp_f32_e32 v6, v6                                       // 0000000070F4: 7E0C4106
	v_exp_f32_e32 v7, v7                                       // 0000000070F8: 7E0E4107
	v_add_f32_e64 v4, v4, 1.0                                  // 0000000070FC: D1010004 0001E504
	v_add_f32_e64 v5, v5, 1.0                                  // 000000007104: D1010005 0001E505
	v_add_f32_e64 v6, v6, 1.0                                  // 00000000710C: D1010006 0001E506
	v_add_f32_e64 v7, v7, 1.0                                  // 000000007114: D1010007 0001E507
	v_rcp_f32_e32 v4, v4                                       // 00000000711C: 7E084504
	v_rcp_f32_e32 v5, v5                                       // 000000007120: 7E0A4505
	v_rcp_f32_e32 v6, v6                                       // 000000007124: 7E0C4506
	v_rcp_f32_e32 v7, v7                                       // 000000007128: 7E0E4507
	v_mul_f32_e32 v48, v48, v4                                 // 00000000712C: 0A600930
	v_mul_f32_e32 v49, v49, v5                                 // 000000007130: 0A620B31
	v_mul_f32_e32 v50, v50, v6                                 // 000000007134: 0A640D32
	v_mul_f32_e32 v51, v51, v7                                 // 000000007138: 0A660F33
	v_mul_f32_e32 v48, v48, v64                                // 00000000713C: 0A608130
	v_mul_f32_e32 v49, v49, v65                                // 000000007140: 0A628331
	v_mul_f32_e32 v50, v50, v66                                // 000000007144: 0A648532
	v_mul_f32_e32 v51, v51, v67                                // 000000007148: 0A668733
	v_mul_f32_e64 v4, -v52, s6                                 // 00000000714C: D1050004 20000D34
	v_mul_f32_e64 v5, -v53, s6                                 // 000000007154: D1050005 20000D35
	v_mul_f32_e64 v6, -v54, s6                                 // 00000000715C: D1050006 20000D36
	v_mul_f32_e64 v7, -v55, s6                                 // 000000007164: D1050007 20000D37
	v_exp_f32_e32 v4, v4                                       // 00000000716C: 7E084104
	v_exp_f32_e32 v5, v5                                       // 000000007170: 7E0A4105
	v_exp_f32_e32 v6, v6                                       // 000000007174: 7E0C4106
	v_exp_f32_e32 v7, v7                                       // 000000007178: 7E0E4107
	v_add_f32_e64 v4, v4, 1.0                                  // 00000000717C: D1010004 0001E504
	v_add_f32_e64 v5, v5, 1.0                                  // 000000007184: D1010005 0001E505
	v_add_f32_e64 v6, v6, 1.0                                  // 00000000718C: D1010006 0001E506
	v_add_f32_e64 v7, v7, 1.0                                  // 000000007194: D1010007 0001E507
	v_rcp_f32_e32 v4, v4                                       // 00000000719C: 7E084504
	v_rcp_f32_e32 v5, v5                                       // 0000000071A0: 7E0A4505
	v_rcp_f32_e32 v6, v6                                       // 0000000071A4: 7E0C4506
	v_rcp_f32_e32 v7, v7                                       // 0000000071A8: 7E0E4507
	v_mul_f32_e32 v52, v52, v4                                 // 0000000071AC: 0A680934
	v_mul_f32_e32 v53, v53, v5                                 // 0000000071B0: 0A6A0B35
	v_mul_f32_e32 v54, v54, v6                                 // 0000000071B4: 0A6C0D36
	v_mul_f32_e32 v55, v55, v7                                 // 0000000071B8: 0A6E0F37
	v_mul_f32_e32 v52, v52, v68                                // 0000000071BC: 0A688934
	v_mul_f32_e32 v53, v53, v69                                // 0000000071C0: 0A6A8B35
	v_mul_f32_e32 v54, v54, v70                                // 0000000071C4: 0A6C8D36
	v_mul_f32_e32 v55, v55, v71                                // 0000000071C8: 0A6E8F37
	v_mul_f32_e64 v4, -v56, s6                                 // 0000000071CC: D1050004 20000D38
	v_mul_f32_e64 v5, -v57, s6                                 // 0000000071D4: D1050005 20000D39
	v_mul_f32_e64 v6, -v58, s6                                 // 0000000071DC: D1050006 20000D3A
	v_mul_f32_e64 v7, -v59, s6                                 // 0000000071E4: D1050007 20000D3B
	v_exp_f32_e32 v4, v4                                       // 0000000071EC: 7E084104
	v_exp_f32_e32 v5, v5                                       // 0000000071F0: 7E0A4105
	v_exp_f32_e32 v6, v6                                       // 0000000071F4: 7E0C4106
	v_exp_f32_e32 v7, v7                                       // 0000000071F8: 7E0E4107
	v_add_f32_e64 v4, v4, 1.0                                  // 0000000071FC: D1010004 0001E504
	v_add_f32_e64 v5, v5, 1.0                                  // 000000007204: D1010005 0001E505
	v_add_f32_e64 v6, v6, 1.0                                  // 00000000720C: D1010006 0001E506
	v_add_f32_e64 v7, v7, 1.0                                  // 000000007214: D1010007 0001E507
	v_rcp_f32_e32 v4, v4                                       // 00000000721C: 7E084504
	v_rcp_f32_e32 v5, v5                                       // 000000007220: 7E0A4505
	v_rcp_f32_e32 v6, v6                                       // 000000007224: 7E0C4506
	v_rcp_f32_e32 v7, v7                                       // 000000007228: 7E0E4507
	v_mul_f32_e32 v56, v56, v4                                 // 00000000722C: 0A700938
	v_mul_f32_e32 v57, v57, v5                                 // 000000007230: 0A720B39
	v_mul_f32_e32 v58, v58, v6                                 // 000000007234: 0A740D3A
	v_mul_f32_e32 v59, v59, v7                                 // 000000007238: 0A760F3B
	v_mul_f32_e32 v56, v56, v72                                // 00000000723C: 0A709138
	v_mul_f32_e32 v57, v57, v73                                // 000000007240: 0A729339
	v_mul_f32_e32 v58, v58, v74                                // 000000007244: 0A74953A
	v_mul_f32_e32 v59, v59, v75                                // 000000007248: 0A76973B

000000000000724c <label_1216>:
	s_cmp_eq_u32 s7, 0                                         // 00000000724C: BF068007
	s_cbranch_scc0 label_1220                                  // 000000007250: BF840008
	v_and_b32_e32 v4, 15, v0                                   // 000000007254: 2608008F
	v_lshlrev_b32_e32 v4, 2, v4                                // 000000007258: 24080882
	buffer_load_dword v30, v4, s[12:15], 0 offen               // 00000000725C: E0501000 80031E04
	v_add_u32_e32 v4, 64, v4                                   // 000000007264: 680808C0
	buffer_load_dword v31, v4, s[12:15], 0 offen               // 000000007268: E0501000 80031F04
	v_add_u32_e32 v4, 64, v4                                   // 000000007270: 680808C0

0000000000007274 <label_1220>:
	v_lshlrev_b32_e32 v4, 2, v0                                // 000000007274: 24080082
	s_mul_i32 s60, 0x100, s7                                   // 000000007278: 923C07FF 00000100
	v_add_u32_e32 v62, s60, v4                                 // 000000007280: 687C083C
	v_and_b32_e32 v4, 15, v0                                   // 000000007284: 2608008F
	v_lshlrev_b32_e32 v63, 2, v4                               // 000000007288: 247E0882
	s_waitcnt lgkmcnt(0)                                       // 00000000728C: BF8CC07F
	s_barrier                                                  // 000000007290: BF8A0000
	v_mov_b32_e32 v60, 0x358637bd                              // 000000007294: 7E7802FF 358637BD
	v_max3_f32 v60, |v44|, |v45|, v60                          // 00000000729C: D1D3033C 04F25B2C
	v_max3_f32 v60, |v46|, |v47|, v60                          // 0000000072A4: D1D3033C 04F25F2E
	v_max3_f32 v60, |v52|, |v53|, v60                          // 0000000072AC: D1D3033C 04F26B34
	v_max3_f32 v60, |v54|, |v55|, v60                          // 0000000072B4: D1D3033C 04F26F36
	ds_write_b32 v62, v60                                      // 0000000072BC: D81A0000 00003C3E
	s_waitcnt lgkmcnt(0)                                       // 0000000072C4: BF8CC07F
	s_barrier                                                  // 0000000072C8: BF8A0000
	ds_read_b32 v4, v63                                        // 0000000072CC: D86C0000 0400003F
	ds_read_b32 v5, v63 offset:64                              // 0000000072D4: D86C0040 0500003F
	ds_read_b32 v6, v63 offset:128                             // 0000000072DC: D86C0080 0600003F
	ds_read_b32 v7, v63 offset:192                             // 0000000072E4: D86C00C0 0700003F
	ds_read_b32 v8, v63 offset:256                             // 0000000072EC: D86C0100 0800003F
	ds_read_b32 v9, v63 offset:320                             // 0000000072F4: D86C0140 0900003F
	ds_read_b32 v10, v63 offset:384                            // 0000000072FC: D86C0180 0A00003F
	ds_read_b32 v11, v63 offset:448                            // 000000007304: D86C01C0 0B00003F
	ds_read_b32 v12, v63 offset:512                            // 00000000730C: D86C0200 0C00003F
	ds_read_b32 v13, v63 offset:576                            // 000000007314: D86C0240 0D00003F
	ds_read_b32 v14, v63 offset:640                            // 00000000731C: D86C0280 0E00003F
	ds_read_b32 v15, v63 offset:704                            // 000000007324: D86C02C0 0F00003F
	ds_read_b32 v16, v63 offset:768                            // 00000000732C: D86C0300 1000003F
	ds_read_b32 v17, v63 offset:832                            // 000000007334: D86C0340 1100003F
	ds_read_b32 v18, v63 offset:896                            // 00000000733C: D86C0380 1200003F
	ds_read_b32 v19, v63 offset:960                            // 000000007344: D86C03C0 1300003F
	s_waitcnt lgkmcnt(0)                                       // 00000000734C: BF8CC07F
	s_barrier                                                  // 000000007350: BF8A0000
	v_max3_f32 v60, |v4|, |v5|, v60                            // 000000007354: D1D3033C 04F20B04
	v_max3_f32 v60, |v6|, |v7|, v60                            // 00000000735C: D1D3033C 04F20F06
	v_max3_f32 v60, |v8|, |v9|, v60                            // 000000007364: D1D3033C 04F21308
	v_max3_f32 v60, |v10|, |v11|, v60                          // 00000000736C: D1D3033C 04F2170A
	v_max3_f32 v60, |v12|, |v13|, v60                          // 000000007374: D1D3033C 04F21B0C
	v_max3_f32 v60, |v14|, |v15|, v60                          // 00000000737C: D1D3033C 04F21F0E
	v_max3_f32 v60, |v16|, |v17|, v60                          // 000000007384: D1D3033C 04F22310
	v_max3_f32 v60, |v18|, |v19|, v60                          // 00000000738C: D1D3033C 04F22712
	v_rcp_f32_e32 v60, v60                                     // 000000007394: 7E78453C
	v_mov_b32_e32 v4, 0x43700000                               // 000000007398: 7E0802FF 43700000
	v_mul_f32_e32 v60, v4, v60                                 // 0000000073A0: 0A787904
	v_mov_b32_e32 v4, v60                                      // 0000000073A4: 7E08033C
	v_mov_b32_e32 v5, v4                                       // 0000000073A8: 7E0A0304
	v_pk_mul_f32 v[44:45], v[4:5], v[44:45]                    // 0000000073AC: D3B1402C 18025904
	v_pk_mul_f32 v[46:47], v[4:5], v[46:47]                    // 0000000073B4: D3B1402E 18025D04
	v_cvt_pk_fp8_f32 v44, v44, v45                             // 0000000073BC: D2A2002C 00025B2C
	v_cvt_pk_fp8_f32 v44, v46, v47 op_sel:[0,0,1]              // 0000000073C4: D2A2402C 00025F2E
	v_pk_mul_f32 v[52:53], v[4:5], v[52:53]                    // 0000000073CC: D3B14034 18026904
	v_pk_mul_f32 v[54:55], v[4:5], v[54:55]                    // 0000000073D4: D3B14036 18026D04
	v_cvt_pk_fp8_f32 v52, v52, v53                             // 0000000073DC: D2A20034 00026B34
	v_cvt_pk_fp8_f32 v52, v54, v55 op_sel:[0,0,1]              // 0000000073E4: D2A24034 00026F36
	v_rcp_f32_e32 v60, v60                                     // 0000000073EC: 7E78453C
	v_mov_b32_e32 v61, 0x358637bd                              // 0000000073F0: 7E7A02FF 358637BD
	v_max3_f32 v61, |v48|, |v49|, v61                          // 0000000073F8: D1D3033D 04F66330
	v_max3_f32 v61, |v50|, |v51|, v61                          // 000000007400: D1D3033D 04F66732
	v_max3_f32 v61, |v56|, |v57|, v61                          // 000000007408: D1D3033D 04F67338
	v_max3_f32 v61, |v58|, |v59|, v61                          // 000000007410: D1D3033D 04F6773A
	ds_write_b32 v62, v61                                      // 000000007418: D81A0000 00003D3E
	s_waitcnt lgkmcnt(0)                                       // 000000007420: BF8CC07F
	s_barrier                                                  // 000000007424: BF8A0000
	ds_read_b32 v4, v63                                        // 000000007428: D86C0000 0400003F
	ds_read_b32 v5, v63 offset:64                              // 000000007430: D86C0040 0500003F
	ds_read_b32 v6, v63 offset:128                             // 000000007438: D86C0080 0600003F
	ds_read_b32 v7, v63 offset:192                             // 000000007440: D86C00C0 0700003F
	ds_read_b32 v8, v63 offset:256                             // 000000007448: D86C0100 0800003F
	ds_read_b32 v9, v63 offset:320                             // 000000007450: D86C0140 0900003F
	ds_read_b32 v10, v63 offset:384                            // 000000007458: D86C0180 0A00003F
	ds_read_b32 v11, v63 offset:448                            // 000000007460: D86C01C0 0B00003F
	ds_read_b32 v12, v63 offset:512                            // 000000007468: D86C0200 0C00003F
	ds_read_b32 v13, v63 offset:576                            // 000000007470: D86C0240 0D00003F
	ds_read_b32 v14, v63 offset:640                            // 000000007478: D86C0280 0E00003F
	ds_read_b32 v15, v63 offset:704                            // 000000007480: D86C02C0 0F00003F
	ds_read_b32 v16, v63 offset:768                            // 000000007488: D86C0300 1000003F
	ds_read_b32 v17, v63 offset:832                            // 000000007490: D86C0340 1100003F
	ds_read_b32 v18, v63 offset:896                            // 000000007498: D86C0380 1200003F
	ds_read_b32 v19, v63 offset:960                            // 0000000074A0: D86C03C0 1300003F
	s_waitcnt lgkmcnt(0)                                       // 0000000074A8: BF8CC07F
	s_barrier                                                  // 0000000074AC: BF8A0000
	v_max3_f32 v61, |v4|, |v5|, v61                            // 0000000074B0: D1D3033D 04F60B04
	v_max3_f32 v61, |v6|, |v7|, v61                            // 0000000074B8: D1D3033D 04F60F06
	v_max3_f32 v61, |v8|, |v9|, v61                            // 0000000074C0: D1D3033D 04F61308
	v_max3_f32 v61, |v10|, |v11|, v61                          // 0000000074C8: D1D3033D 04F6170A
	v_max3_f32 v61, |v12|, |v13|, v61                          // 0000000074D0: D1D3033D 04F61B0C
	v_max3_f32 v61, |v14|, |v15|, v61                          // 0000000074D8: D1D3033D 04F61F0E
	v_max3_f32 v61, |v16|, |v17|, v61                          // 0000000074E0: D1D3033D 04F62310
	v_max3_f32 v61, |v18|, |v19|, v61                          // 0000000074E8: D1D3033D 04F62712
	v_rcp_f32_e32 v61, v61                                     // 0000000074F0: 7E7A453D
	v_mov_b32_e32 v4, 0x43700000                               // 0000000074F4: 7E0802FF 43700000
	v_mul_f32_e32 v61, v4, v61                                 // 0000000074FC: 0A7A7B04
	v_mov_b32_e32 v4, v61                                      // 000000007500: 7E08033D
	v_mov_b32_e32 v5, v4                                       // 000000007504: 7E0A0304
	v_pk_mul_f32 v[48:49], v[4:5], v[48:49]                    // 000000007508: D3B14030 18026104
	v_pk_mul_f32 v[50:51], v[4:5], v[50:51]                    // 000000007510: D3B14032 18026504
	v_cvt_pk_fp8_f32 v48, v48, v49                             // 000000007518: D2A20030 00026330
	v_cvt_pk_fp8_f32 v48, v50, v51 op_sel:[0,0,1]              // 000000007520: D2A24030 00026732
	v_pk_mul_f32 v[56:57], v[4:5], v[56:57]                    // 000000007528: D3B14038 18027104
	v_pk_mul_f32 v[58:59], v[4:5], v[58:59]                    // 000000007530: D3B1403A 18027504
	v_cvt_pk_fp8_f32 v56, v56, v57                             // 000000007538: D2A20038 00027338
	v_cvt_pk_fp8_f32 v56, v58, v59 op_sel:[0,0,1]              // 000000007540: D2A24038 0002773A
	v_rcp_f32_e32 v61, v61                                     // 000000007548: 7E7A453D
	v_lshrrev_b32_e32 v4, 5, v0                                // 00000000754C: 20080085
	v_mul_lo_u32 v20, 34, v4                                   // 000000007550: D2850014 000208A2
	v_and_b32_e32 v4, 31, v0                                   // 000000007558: 2608009F
	v_lshrrev_b32_e32 v5, 4, v4                                // 00000000755C: 200A0884
	v_add_u32_e32 v20, v5, v20                                 // 000000007560: 68282905
	v_and_b32_e32 v4, 15, v0                                   // 000000007564: 2608008F
	v_mul_lo_u32 v5, 2, v4                                     // 000000007568: D2850005 00020882
	v_add_u32_e32 v20, v5, v20                                 // 000000007570: 68282905
	s_mul_i32 s60, s7, 0x44                                    // 000000007574: 923CFF07 00000044
	v_add_u32_e32 v20, s60, v20                                // 00000000757C: 6828283C
	v_lshlrev_b32_e32 v20, 2, v20                              // 000000007580: 24282882
	ds_write_b32 v20, v44                                      // 000000007584: D81A0000 00002C14
	ds_write_b32 v20, v48 offset:2176                          // 00000000758C: D81A0880 00003014
	ds_write_b32 v20, v52 offset:1088                          // 000000007594: D81A0440 00003414
	ds_write_b32 v20, v56 offset:3264                          // 00000000759C: D81A0CC0 00003814
	v_lshrrev_b32_e32 v4, 5, v0                                // 0000000075A4: 20080085
	v_xor_b32_e32 v5, 1, v4                                    // 0000000075A8: 2A0A0881
	s_mul_i32 s60, s65, 1                                      // 0000000075AC: 923C8141
	s_cmp_eq_u32 s88, 0                                        // 0000000075B0: BF068058
	s_cselect_b32 s61, 1, 8                                    // 0000000075B4: 853D8881
	s_mul_i32 s60, s61, s60                                    // 0000000075B8: 923C3C3D
	v_readlane_b32 s82, v3, 0                                  // 0000000075BC: D2890052 00010103
	s_lshr_b32 s61, s82, 24                                    // 0000000075C4: 8F3D9852
	s_and_b32 s82, s82, 0xffffff                               // 0000000075C8: 8652FF52 00FFFFFF
	s_mul_i32 s82, s82, s71                                    // 0000000075D0: 92524752
	s_mul_i32 s61, s60, s61                                    // 0000000075D4: 923D3D3C
	s_add_u32 s82, s82, s61                                    // 0000000075D8: 80523D52
	v_mul_lo_u32 v6, v5, s82                                   // 0000000075DC: D2850006 0000A505
	v_readlane_b32 s82, v3, 1                                  // 0000000075E4: D2890052 00010303
	s_lshr_b32 s61, s82, 24                                    // 0000000075EC: 8F3D9852
	s_and_b32 s82, s82, 0xffffff                               // 0000000075F0: 8652FF52 00FFFFFF
	s_mul_i32 s82, s82, s71                                    // 0000000075F8: 92524752
	s_mul_i32 s61, s60, s61                                    // 0000000075FC: 923D3D3C
	s_add_u32 s82, s82, s61                                    // 000000007600: 80523D52
	v_mul_lo_u32 v7, v4, s82                                   // 000000007604: D2850007 0000A504
	v_add_u32_e32 v38, v6, v7                                  // 00000000760C: 684C0F06
	v_readlane_b32 s82, v3, 2                                  // 000000007610: D2890052 00010503
	s_lshr_b32 s61, s82, 24                                    // 000000007618: 8F3D9852
	s_and_b32 s82, s82, 0xffffff                               // 00000000761C: 8652FF52 00FFFFFF
	s_mul_i32 s82, s82, s71                                    // 000000007624: 92524752
	s_mul_i32 s61, s60, s61                                    // 000000007628: 923D3D3C
	s_add_u32 s82, s82, s61                                    // 00000000762C: 80523D52
	v_mul_lo_u32 v6, v5, s82                                   // 000000007630: D2850006 0000A505
	v_readlane_b32 s82, v3, 3                                  // 000000007638: D2890052 00010703
	s_lshr_b32 s61, s82, 24                                    // 000000007640: 8F3D9852
	s_and_b32 s82, s82, 0xffffff                               // 000000007644: 8652FF52 00FFFFFF
	s_mul_i32 s82, s82, s71                                    // 00000000764C: 92524752
	s_mul_i32 s61, s60, s61                                    // 000000007650: 923D3D3C
	s_add_u32 s82, s82, s61                                    // 000000007654: 80523D52
	v_mul_lo_u32 v7, v4, s82                                   // 000000007658: D2850007 0000A504
	v_add_u32_e32 v39, v6, v7                                  // 000000007660: 684E0F06
	v_readlane_b32 s82, v3, 4                                  // 000000007664: D2890052 00010903
	s_lshr_b32 s61, s82, 24                                    // 00000000766C: 8F3D9852
	s_and_b32 s82, s82, 0xffffff                               // 000000007670: 8652FF52 00FFFFFF
	s_mul_i32 s82, s82, s71                                    // 000000007678: 92524752
	s_mul_i32 s61, s60, s61                                    // 00000000767C: 923D3D3C
	s_add_u32 s82, s82, s61                                    // 000000007680: 80523D52
	v_mul_lo_u32 v6, v5, s82                                   // 000000007684: D2850006 0000A505
	v_readlane_b32 s82, v3, 5                                  // 00000000768C: D2890052 00010B03
	s_lshr_b32 s61, s82, 24                                    // 000000007694: 8F3D9852
	s_and_b32 s82, s82, 0xffffff                               // 000000007698: 8652FF52 00FFFFFF
	s_mul_i32 s82, s82, s71                                    // 0000000076A0: 92524752
	s_mul_i32 s61, s60, s61                                    // 0000000076A4: 923D3D3C
	s_add_u32 s82, s82, s61                                    // 0000000076A8: 80523D52
	v_mul_lo_u32 v7, v4, s82                                   // 0000000076AC: D2850007 0000A504
	v_add_u32_e32 v40, v6, v7                                  // 0000000076B4: 68500F06
	v_readlane_b32 s82, v3, 6                                  // 0000000076B8: D2890052 00010D03
	s_lshr_b32 s61, s82, 24                                    // 0000000076C0: 8F3D9852
	s_and_b32 s82, s82, 0xffffff                               // 0000000076C4: 8652FF52 00FFFFFF
	s_mul_i32 s82, s82, s71                                    // 0000000076CC: 92524752
	s_mul_i32 s61, s60, s61                                    // 0000000076D0: 923D3D3C
	s_add_u32 s82, s82, s61                                    // 0000000076D4: 80523D52
	v_mul_lo_u32 v6, v5, s82                                   // 0000000076D8: D2850006 0000A505
	v_readlane_b32 s82, v3, 7                                  // 0000000076E0: D2890052 00010F03
	s_lshr_b32 s61, s82, 24                                    // 0000000076E8: 8F3D9852
	s_and_b32 s82, s82, 0xffffff                               // 0000000076EC: 8652FF52 00FFFFFF
	s_mul_i32 s82, s82, s71                                    // 0000000076F4: 92524752
	s_mul_i32 s61, s60, s61                                    // 0000000076F8: 923D3D3C
	s_add_u32 s82, s82, s61                                    // 0000000076FC: 80523D52
	v_mul_lo_u32 v7, v4, s82                                   // 000000007700: D2850007 0000A504
	v_add_u32_e32 v41, v6, v7                                  // 000000007708: 68520F06
	v_and_b32_e32 v4, 31, v0                                   // 00000000770C: 2608009F
	v_lshrrev_b32_e32 v4, 1, v4                                // 000000007710: 20080881
	s_cmp_eq_u32 s88, 0                                        // 000000007714: BF068058
	s_cselect_b32 s61, 2, 4                                    // 000000007718: 853D8482
	v_mul_lo_u32 v4, v4, s61                                   // 00000000771C: D2850004 00007B04
	v_and_b32_e64 v5, v0, 1                                    // 000000007724: D1130005 00010300
	v_add_u32_e32 v4, v4, v5                                   // 00000000772C: 68080B04
	v_lshlrev_b32_e32 v4, 2, v4                                // 000000007730: 24080882
	v_add_u32_e32 v38, v38, v4                                 // 000000007734: 684C0926
	v_add_u32_e32 v39, v39, v4                                 // 000000007738: 684E0927
	v_add_u32_e32 v40, v40, v4                                 // 00000000773C: 68500928
	v_add_u32_e32 v41, v41, v4                                 // 000000007740: 68520929
	s_waitcnt lgkmcnt(0)                                       // 000000007744: BF8CC07F
	s_barrier                                                  // 000000007748: BF8A0000
	ds_read_b32 v44, v21                                       // 00000000774C: D86C0000 2C000015
	ds_read_b32 v45, v21 offset:64                             // 000000007754: D86C0040 2D000015
	ds_read_b32 v46, v21 offset:2176                           // 00000000775C: D86C0880 2E000015
	ds_read_b32 v47, v21 offset:2240                           // 000000007764: D86C08C0 2F000015
	s_waitcnt lgkmcnt(0)                                       // 00000000776C: BF8CC07F
	s_mov_b32 s36, -1                                          // 000000007770: BEA400C1
	s_mov_b32 s37, -1                                          // 000000007774: BEA500C1
	v_mov_b32_e32 v7, 0                                        // 000000007778: 7E0E0280
	s_or_b32 s9, s9, 0x40000                                   // 00000000777C: 8709FF09 00040000
	s_mov_b64 exec, s[36:37]                                   // 000000007784: BEFE0124
	v_mov_b32_e32 v6, v38                                      // 000000007788: 7E0C0326
	s_mov_b64 s[60:61], 0                                      // 00000000778C: BEBC0180
	v_readlane_b32 s82, v3, 0                                  // 000000007790: D2890052 00010103
	s_and_b32 s82, s82, 0xffffff                               // 000000007798: 8652FF52 00FFFFFF
	s_cmp_lt_u32 s82, s66                                      // 0000000077A0: BF0A4252
	s_cselect_b32 s20, s36, s60                                // 0000000077A4: 85143C24
	v_readlane_b32 s82, v3, 1                                  // 0000000077A8: D2890052 00010303
	s_and_b32 s82, s82, 0xffffff                               // 0000000077B0: 8652FF52 00FFFFFF
	s_cmp_lt_u32 s82, s66                                      // 0000000077B8: BF0A4252
	s_cselect_b32 s21, s36, s60                                // 0000000077BC: 85153C24
	s_mov_b64 exec, s[20:21]                                   // 0000000077C0: BEFE0114
	buffer_store_dword v44, v6, s[8:11], 0 offen               // 0000000077C4: E0701000 80022C06
	s_mov_b64 exec, s[36:37]                                   // 0000000077CC: BEFE0124
	v_mov_b32_e32 v6, v39                                      // 0000000077D0: 7E0C0327
	s_mov_b64 s[60:61], 0                                      // 0000000077D4: BEBC0180
	v_readlane_b32 s82, v3, 2                                  // 0000000077D8: D2890052 00010503
	s_and_b32 s82, s82, 0xffffff                               // 0000000077E0: 8652FF52 00FFFFFF
	s_cmp_lt_u32 s82, s66                                      // 0000000077E8: BF0A4252
	s_cselect_b32 s20, s36, s60                                // 0000000077EC: 85143C24
	v_readlane_b32 s82, v3, 3                                  // 0000000077F0: D2890052 00010703
	s_and_b32 s82, s82, 0xffffff                               // 0000000077F8: 8652FF52 00FFFFFF
	s_cmp_lt_u32 s82, s66                                      // 000000007800: BF0A4252
	s_cselect_b32 s21, s36, s60                                // 000000007804: 85153C24
	s_mov_b64 exec, s[20:21]                                   // 000000007808: BEFE0114
	buffer_store_dword v45, v6, s[8:11], 0 offen               // 00000000780C: E0701000 80022D06
	s_mov_b64 exec, s[36:37]                                   // 000000007814: BEFE0124
	v_mov_b32_e32 v6, v40                                      // 000000007818: 7E0C0328
	s_mov_b64 s[60:61], 0                                      // 00000000781C: BEBC0180
	v_readlane_b32 s82, v3, 4                                  // 000000007820: D2890052 00010903
	s_and_b32 s82, s82, 0xffffff                               // 000000007828: 8652FF52 00FFFFFF
	s_cmp_lt_u32 s82, s66                                      // 000000007830: BF0A4252
	s_cselect_b32 s20, s36, s60                                // 000000007834: 85143C24
	v_readlane_b32 s82, v3, 5                                  // 000000007838: D2890052 00010B03
	s_and_b32 s82, s82, 0xffffff                               // 000000007840: 8652FF52 00FFFFFF
	s_cmp_lt_u32 s82, s66                                      // 000000007848: BF0A4252
	s_cselect_b32 s21, s36, s60                                // 00000000784C: 85153C24
	s_mov_b64 exec, s[20:21]                                   // 000000007850: BEFE0114
	buffer_store_dword v46, v6, s[8:11], 0 offen               // 000000007854: E0701000 80022E06
	s_mov_b64 exec, s[36:37]                                   // 00000000785C: BEFE0124
	v_mov_b32_e32 v6, v41                                      // 000000007860: 7E0C0329
	s_mov_b64 s[60:61], 0                                      // 000000007864: BEBC0180
	v_readlane_b32 s82, v3, 6                                  // 000000007868: D2890052 00010D03
	s_and_b32 s82, s82, 0xffffff                               // 000000007870: 8652FF52 00FFFFFF
	s_cmp_lt_u32 s82, s66                                      // 000000007878: BF0A4252
	s_cselect_b32 s20, s36, s60                                // 00000000787C: 85143C24
	v_readlane_b32 s82, v3, 7                                  // 000000007880: D2890052 00010F03
	s_and_b32 s82, s82, 0xffffff                               // 000000007888: 8652FF52 00FFFFFF
	s_cmp_lt_u32 s82, s66                                      // 000000007890: BF0A4252
	s_cselect_b32 s21, s36, s60                                // 000000007894: 85153C24
	s_mov_b64 exec, s[20:21]                                   // 000000007898: BEFE0114
	buffer_store_dword v47, v6, s[8:11], 0 offen               // 00000000789C: E0701000 80022F06
	s_mov_b64 exec, s[36:37]                                   // 0000000078A4: BEFE0124
	s_cmp_eq_u32 s7, 0                                         // 0000000078A8: BF068007
	s_cbranch_scc0 label_15F6                                  // 0000000078AC: BF840247
	s_waitcnt vmcnt(4)                                         // 0000000078B0: BF8C0F74
	s_mov_b32 s8, s90                                          // 0000000078B4: BE88005A
	s_mov_b32 s9, s91                                          // 0000000078B8: BE89005B
	s_mul_i32 s60, s66, s71                                    // 0000000078BC: 923C4742
	s_add_u32 s8, s60, s8                                      // 0000000078C0: 8008083C
	s_addc_u32 s9, 0, s9                                       // 0000000078C4: 82090980
	s_lshr_b32 s71, s71, 5                                     // 0000000078C8: 8F478547
	s_mul_i32 s60, s66, s71                                    // 0000000078CC: 923C4742
	s_mov_b32 s10, s60                                         // 0000000078D0: BE8A003C
	s_lshr_b32 s61, s65, 5                                     // 0000000078D4: 8F3D8541
	s_mul_i32 s60, s2, 4                                       // 0000000078D8: 923C8402
	v_lshrrev_b32_e32 v4, 24, v30                              // 0000000078DC: 20083C98
	v_mul_lo_u32 v4, s61, v4                                   // 0000000078E0: D2850004 0002083D
	v_and_b32_e32 v30, 0xffffff, v30                           // 0000000078E8: 263C3CFF 00FFFFFF
	v_mul_lo_u32 v30, s71, v30                                 // 0000000078F0: D285001E 00023C47
	v_add_u32_e32 v30, v4, v30                                 // 0000000078F8: 683C3D04
	v_add_u32_e32 v30, s60, v30                                // 0000000078FC: 683C3C3C
	v_lshrrev_b32_e32 v4, 24, v31                              // 000000007900: 20083E98
	v_mul_lo_u32 v4, s61, v4                                   // 000000007904: D2850004 0002083D
	v_and_b32_e32 v31, 0xffffff, v31                           // 00000000790C: 263E3EFF 00FFFFFF
	v_mul_lo_u32 v31, s71, v31                                 // 000000007914: D285001F 00023E47
	v_add_u32_e32 v31, v4, v31                                 // 00000000791C: 683E3F04
	v_add_u32_e32 v31, s60, v31                                // 000000007920: 683E3E3C
	s_mov_b64 exec, 0xffff                                     // 000000007924: BEFE01FF 0000FFFF
	buffer_store_dword v60, v30, s[8:11], 0 offen              // 00000000792C: E0701000 80023C1E
	buffer_store_dword v61, v31, s[8:11], 0 offen              // 000000007934: E0701000 80023D1F
	s_mov_b64 exec, s[36:37]                                   // 00000000793C: BEFE0124
	s_branch label_15F6                                        // 000000007940: BF820222

0000000000007944 <label_13D4>:
	ds_write_b64 v20, v[44:45]                                 // 000000007944: D89A0000 00002C14
	ds_write_b64 v20, v[48:49] offset:4352                     // 00000000794C: D89A1100 00003014
	ds_write_b64 v20, v[52:53] offset:2176                     // 000000007954: D89A0880 00003414
	ds_write_b64 v20, v[56:57] offset:6528                     // 00000000795C: D89A1980 00003814
	v_lshrrev_b32_e32 v4, 5, v0                                // 000000007964: 20080085
	v_xor_b32_e32 v5, 1, v4                                    // 000000007968: 2A0A0881
	s_mul_i32 s60, s65, 1                                      // 00000000796C: 923C8141
	s_cmp_eq_u32 s88, 0                                        // 000000007970: BF068058
	s_cselect_b32 s61, 1, 8                                    // 000000007974: 853D8881
	s_mul_i32 s60, s61, s60                                    // 000000007978: 923C3C3D
	v_readlane_b32 s82, v3, 0                                  // 00000000797C: D2890052 00010103
	s_lshr_b32 s61, s82, 24                                    // 000000007984: 8F3D9852
	s_and_b32 s82, s82, 0xffffff                               // 000000007988: 8652FF52 00FFFFFF
	s_mul_i32 s82, s82, s71                                    // 000000007990: 92524752
	s_mul_i32 s61, s60, s61                                    // 000000007994: 923D3D3C
	s_add_u32 s82, s82, s61                                    // 000000007998: 80523D52
	v_mul_lo_u32 v6, v5, s82                                   // 00000000799C: D2850006 0000A505
	v_readlane_b32 s82, v3, 1                                  // 0000000079A4: D2890052 00010303
	s_lshr_b32 s61, s82, 24                                    // 0000000079AC: 8F3D9852
	s_and_b32 s82, s82, 0xffffff                               // 0000000079B0: 8652FF52 00FFFFFF
	s_mul_i32 s82, s82, s71                                    // 0000000079B8: 92524752
	s_mul_i32 s61, s60, s61                                    // 0000000079BC: 923D3D3C
	s_add_u32 s82, s82, s61                                    // 0000000079C0: 80523D52
	v_mul_lo_u32 v7, v4, s82                                   // 0000000079C4: D2850007 0000A504
	v_add_u32_e32 v38, v6, v7                                  // 0000000079CC: 684C0F06
	v_readlane_b32 s82, v3, 2                                  // 0000000079D0: D2890052 00010503
	s_lshr_b32 s61, s82, 24                                    // 0000000079D8: 8F3D9852
	s_and_b32 s82, s82, 0xffffff                               // 0000000079DC: 8652FF52 00FFFFFF
	s_mul_i32 s82, s82, s71                                    // 0000000079E4: 92524752
	s_mul_i32 s61, s60, s61                                    // 0000000079E8: 923D3D3C
	s_add_u32 s82, s82, s61                                    // 0000000079EC: 80523D52
	v_mul_lo_u32 v6, v5, s82                                   // 0000000079F0: D2850006 0000A505
	v_readlane_b32 s82, v3, 3                                  // 0000000079F8: D2890052 00010703
	s_lshr_b32 s61, s82, 24                                    // 000000007A00: 8F3D9852
	s_and_b32 s82, s82, 0xffffff                               // 000000007A04: 8652FF52 00FFFFFF
	s_mul_i32 s82, s82, s71                                    // 000000007A0C: 92524752
	s_mul_i32 s61, s60, s61                                    // 000000007A10: 923D3D3C
	s_add_u32 s82, s82, s61                                    // 000000007A14: 80523D52
	v_mul_lo_u32 v7, v4, s82                                   // 000000007A18: D2850007 0000A504
	v_add_u32_e32 v39, v6, v7                                  // 000000007A20: 684E0F06
	v_readlane_b32 s82, v3, 4                                  // 000000007A24: D2890052 00010903
	s_lshr_b32 s61, s82, 24                                    // 000000007A2C: 8F3D9852
	s_and_b32 s82, s82, 0xffffff                               // 000000007A30: 8652FF52 00FFFFFF
	s_mul_i32 s82, s82, s71                                    // 000000007A38: 92524752
	s_mul_i32 s61, s60, s61                                    // 000000007A3C: 923D3D3C
	s_add_u32 s82, s82, s61                                    // 000000007A40: 80523D52
	v_mul_lo_u32 v6, v5, s82                                   // 000000007A44: D2850006 0000A505
	v_readlane_b32 s82, v3, 5                                  // 000000007A4C: D2890052 00010B03
	s_lshr_b32 s61, s82, 24                                    // 000000007A54: 8F3D9852
	s_and_b32 s82, s82, 0xffffff                               // 000000007A58: 8652FF52 00FFFFFF
	s_mul_i32 s82, s82, s71                                    // 000000007A60: 92524752
	s_mul_i32 s61, s60, s61                                    // 000000007A64: 923D3D3C
	s_add_u32 s82, s82, s61                                    // 000000007A68: 80523D52
	v_mul_lo_u32 v7, v4, s82                                   // 000000007A6C: D2850007 0000A504
	v_add_u32_e32 v40, v6, v7                                  // 000000007A74: 68500F06
	v_readlane_b32 s82, v3, 6                                  // 000000007A78: D2890052 00010D03
	s_lshr_b32 s61, s82, 24                                    // 000000007A80: 8F3D9852
	s_and_b32 s82, s82, 0xffffff                               // 000000007A84: 8652FF52 00FFFFFF
	s_mul_i32 s82, s82, s71                                    // 000000007A8C: 92524752
	s_mul_i32 s61, s60, s61                                    // 000000007A90: 923D3D3C
	s_add_u32 s82, s82, s61                                    // 000000007A94: 80523D52
	v_mul_lo_u32 v6, v5, s82                                   // 000000007A98: D2850006 0000A505
	v_readlane_b32 s82, v3, 7                                  // 000000007AA0: D2890052 00010F03
	s_lshr_b32 s61, s82, 24                                    // 000000007AA8: 8F3D9852
	s_and_b32 s82, s82, 0xffffff                               // 000000007AAC: 8652FF52 00FFFFFF
	s_mul_i32 s82, s82, s71                                    // 000000007AB4: 92524752
	s_mul_i32 s61, s60, s61                                    // 000000007AB8: 923D3D3C
	s_add_u32 s82, s82, s61                                    // 000000007ABC: 80523D52
	v_mul_lo_u32 v7, v4, s82                                   // 000000007AC0: D2850007 0000A504
	v_add_u32_e32 v41, v6, v7                                  // 000000007AC8: 68520F06
	v_and_b32_e32 v4, 31, v0                                   // 000000007ACC: 2608009F
	v_lshrrev_b32_e32 v4, 1, v4                                // 000000007AD0: 20080881
	s_cmp_eq_u32 s88, 0                                        // 000000007AD4: BF068058
	s_cselect_b32 s61, 2, 4                                    // 000000007AD8: 853D8482
	v_mul_lo_u32 v4, v4, s61                                   // 000000007ADC: D2850004 00007B04
	v_and_b32_e64 v5, v0, 1                                    // 000000007AE4: D1130005 00010300
	v_add_u32_e32 v4, v4, v5                                   // 000000007AEC: 68080B04
	v_lshlrev_b32_e32 v4, 2, v4                                // 000000007AF0: 24080882
	v_add_u32_e32 v38, v38, v4                                 // 000000007AF4: 684C0926
	v_add_u32_e32 v39, v39, v4                                 // 000000007AF8: 684E0927
	v_add_u32_e32 v40, v40, v4                                 // 000000007AFC: 68500928
	v_add_u32_e32 v41, v41, v4                                 // 000000007B00: 68520929
	s_waitcnt lgkmcnt(0)                                       // 000000007B04: BF8CC07F
	s_barrier                                                  // 000000007B08: BF8A0000
	ds_read_b32 v44, v21                                       // 000000007B0C: D86C0000 2C000015
	ds_read_b32 v45, v21 offset:64                             // 000000007B14: D86C0040 2D000015
	ds_read_b32 v48, v21 offset:2176                           // 000000007B1C: D86C0880 30000015
	ds_read_b32 v49, v21 offset:2240                           // 000000007B24: D86C08C0 31000015
	ds_read_b32 v52, v21 offset:4352                           // 000000007B2C: D86C1100 34000015
	ds_read_b32 v53, v21 offset:4416                           // 000000007B34: D86C1140 35000015
	ds_read_b32 v56, v21 offset:6528                           // 000000007B3C: D86C1980 38000015
	ds_read_b32 v57, v21 offset:6592                           // 000000007B44: D86C19C0 39000015
	s_waitcnt lgkmcnt(0)                                       // 000000007B4C: BF8CC07F
	s_mov_b32 s36, -1                                          // 000000007B50: BEA400C1
	s_mov_b32 s37, -1                                          // 000000007B54: BEA500C1
	v_mov_b32_e32 v7, 0                                        // 000000007B58: 7E0E0280
	s_mov_b64 exec, s[36:37]                                   // 000000007B5C: BEFE0124
	v_mov_b32_e32 v6, v38                                      // 000000007B60: 7E0C0326
	s_mov_b64 s[60:61], 0                                      // 000000007B64: BEBC0180
	v_readlane_b32 s82, v3, 0                                  // 000000007B68: D2890052 00010103
	s_and_b32 s82, s82, 0xffffff                               // 000000007B70: 8652FF52 00FFFFFF
	s_cmp_lt_u32 s82, s66                                      // 000000007B78: BF0A4252
	s_cselect_b32 s20, s36, s60                                // 000000007B7C: 85143C24
	v_readlane_b32 s82, v3, 1                                  // 000000007B80: D2890052 00010303
	s_and_b32 s82, s82, 0xffffff                               // 000000007B88: 8652FF52 00FFFFFF
	s_cmp_lt_u32 s82, s66                                      // 000000007B90: BF0A4252
	s_cselect_b32 s21, s36, s60                                // 000000007B94: 85153C24
	s_mov_b64 exec, s[20:21]                                   // 000000007B98: BEFE0114
	global_atomic_add_f32 v6, v44, s[8:9]                      // 000000007B9C: DD348000 00082C06
	global_atomic_add_f32 v6, v48, s[8:9] offset:256           // 000000007BA4: DD348100 00083006
	s_mov_b64 exec, s[36:37]                                   // 000000007BAC: BEFE0124
	v_mov_b32_e32 v6, v39                                      // 000000007BB0: 7E0C0327
	s_mov_b64 s[60:61], 0                                      // 000000007BB4: BEBC0180
	v_readlane_b32 s82, v3, 2                                  // 000000007BB8: D2890052 00010503
	s_and_b32 s82, s82, 0xffffff                               // 000000007BC0: 8652FF52 00FFFFFF
	s_cmp_lt_u32 s82, s66                                      // 000000007BC8: BF0A4252
	s_cselect_b32 s20, s36, s60                                // 000000007BCC: 85143C24
	v_readlane_b32 s82, v3, 3                                  // 000000007BD0: D2890052 00010703
	s_and_b32 s82, s82, 0xffffff                               // 000000007BD8: 8652FF52 00FFFFFF
	s_cmp_lt_u32 s82, s66                                      // 000000007BE0: BF0A4252
	s_cselect_b32 s21, s36, s60                                // 000000007BE4: 85153C24
	s_mov_b64 exec, s[20:21]                                   // 000000007BE8: BEFE0114
	global_atomic_add_f32 v6, v45, s[8:9]                      // 000000007BEC: DD348000 00082D06
	global_atomic_add_f32 v6, v49, s[8:9] offset:256           // 000000007BF4: DD348100 00083106
	s_mov_b64 exec, s[36:37]                                   // 000000007BFC: BEFE0124
	v_mov_b32_e32 v6, v40                                      // 000000007C00: 7E0C0328
	s_mov_b64 s[60:61], 0                                      // 000000007C04: BEBC0180
	v_readlane_b32 s82, v3, 4                                  // 000000007C08: D2890052 00010903
	s_and_b32 s82, s82, 0xffffff                               // 000000007C10: 8652FF52 00FFFFFF
	s_cmp_lt_u32 s82, s66                                      // 000000007C18: BF0A4252
	s_cselect_b32 s20, s36, s60                                // 000000007C1C: 85143C24
	v_readlane_b32 s82, v3, 5                                  // 000000007C20: D2890052 00010B03
	s_and_b32 s82, s82, 0xffffff                               // 000000007C28: 8652FF52 00FFFFFF
	s_cmp_lt_u32 s82, s66                                      // 000000007C30: BF0A4252
	s_cselect_b32 s21, s36, s60                                // 000000007C34: 85153C24
	s_mov_b64 exec, s[20:21]                                   // 000000007C38: BEFE0114
	global_atomic_add_f32 v6, v52, s[8:9]                      // 000000007C3C: DD348000 00083406
	global_atomic_add_f32 v6, v56, s[8:9] offset:256           // 000000007C44: DD348100 00083806
	s_mov_b64 exec, s[36:37]                                   // 000000007C4C: BEFE0124
	v_mov_b32_e32 v6, v41                                      // 000000007C50: 7E0C0329
	s_mov_b64 s[60:61], 0                                      // 000000007C54: BEBC0180
	v_readlane_b32 s82, v3, 6                                  // 000000007C58: D2890052 00010D03
	s_and_b32 s82, s82, 0xffffff                               // 000000007C60: 8652FF52 00FFFFFF
	s_cmp_lt_u32 s82, s66                                      // 000000007C68: BF0A4252
	s_cselect_b32 s20, s36, s60                                // 000000007C6C: 85143C24
	v_readlane_b32 s82, v3, 7                                  // 000000007C70: D2890052 00010F03
	s_and_b32 s82, s82, 0xffffff                               // 000000007C78: 8652FF52 00FFFFFF
	s_cmp_lt_u32 s82, s66                                      // 000000007C80: BF0A4252
	s_cselect_b32 s21, s36, s60                                // 000000007C84: 85153C24
	s_mov_b64 exec, s[20:21]                                   // 000000007C88: BEFE0114
	global_atomic_add_f32 v6, v53, s[8:9]                      // 000000007C8C: DD348000 00083506
	global_atomic_add_f32 v6, v57, s[8:9] offset:256           // 000000007C94: DD348100 00083906
	s_mov_b64 exec, s[36:37]                                   // 000000007C9C: BEFE0124
	ds_write_b64 v20, v[46:47]                                 // 000000007CA0: D89A0000 00002E14
	ds_write_b64 v20, v[50:51] offset:4352                     // 000000007CA8: D89A1100 00003214
	ds_write_b64 v20, v[54:55] offset:2176                     // 000000007CB0: D89A0880 00003614
	ds_write_b64 v20, v[58:59] offset:6528                     // 000000007CB8: D89A1980 00003A14
	s_waitcnt lgkmcnt(0)                                       // 000000007CC0: BF8CC07F
	s_barrier                                                  // 000000007CC4: BF8A0000
	ds_read_b32 v46, v21                                       // 000000007CC8: D86C0000 2E000015
	ds_read_b32 v47, v21 offset:64                             // 000000007CD0: D86C0040 2F000015
	ds_read_b32 v50, v21 offset:2176                           // 000000007CD8: D86C0880 32000015
	ds_read_b32 v51, v21 offset:2240                           // 000000007CE0: D86C08C0 33000015
	ds_read_b32 v54, v21 offset:4352                           // 000000007CE8: D86C1100 36000015
	ds_read_b32 v55, v21 offset:4416                           // 000000007CF0: D86C1140 37000015
	ds_read_b32 v58, v21 offset:6528                           // 000000007CF8: D86C1980 3A000015
	ds_read_b32 v59, v21 offset:6592                           // 000000007D00: D86C19C0 3B000015
	s_waitcnt lgkmcnt(0)                                       // 000000007D08: BF8CC07F
	v_mov_b32_e32 v7, 0                                        // 000000007D0C: 7E0E0280
	s_mov_b64 exec, s[36:37]                                   // 000000007D10: BEFE0124
	v_mov_b32_e32 v6, v38                                      // 000000007D14: 7E0C0326
	s_mov_b64 s[60:61], 0                                      // 000000007D18: BEBC0180
	v_readlane_b32 s82, v3, 0                                  // 000000007D1C: D2890052 00010103
	s_and_b32 s82, s82, 0xffffff                               // 000000007D24: 8652FF52 00FFFFFF
	s_cmp_lt_u32 s82, s66                                      // 000000007D2C: BF0A4252
	s_cselect_b32 s20, s36, s60                                // 000000007D30: 85143C24
	v_readlane_b32 s82, v3, 1                                  // 000000007D34: D2890052 00010303
	s_and_b32 s82, s82, 0xffffff                               // 000000007D3C: 8652FF52 00FFFFFF
	s_cmp_lt_u32 s82, s66                                      // 000000007D44: BF0A4252
	s_cselect_b32 s21, s36, s60                                // 000000007D48: 85153C24
	s_mov_b64 exec, s[20:21]                                   // 000000007D4C: BEFE0114
	global_atomic_add_f32 v6, v46, s[8:9] offset:8             // 000000007D50: DD348008 00082E06
	global_atomic_add_f32 v6, v50, s[8:9] offset:264           // 000000007D58: DD348108 00083206
	s_mov_b64 exec, s[36:37]                                   // 000000007D60: BEFE0124
	v_mov_b32_e32 v6, v39                                      // 000000007D64: 7E0C0327
	s_mov_b64 s[60:61], 0                                      // 000000007D68: BEBC0180
	v_readlane_b32 s82, v3, 2                                  // 000000007D6C: D2890052 00010503
	s_and_b32 s82, s82, 0xffffff                               // 000000007D74: 8652FF52 00FFFFFF
	s_cmp_lt_u32 s82, s66                                      // 000000007D7C: BF0A4252
	s_cselect_b32 s20, s36, s60                                // 000000007D80: 85143C24
	v_readlane_b32 s82, v3, 3                                  // 000000007D84: D2890052 00010703
	s_and_b32 s82, s82, 0xffffff                               // 000000007D8C: 8652FF52 00FFFFFF
	s_cmp_lt_u32 s82, s66                                      // 000000007D94: BF0A4252
	s_cselect_b32 s21, s36, s60                                // 000000007D98: 85153C24
	s_mov_b64 exec, s[20:21]                                   // 000000007D9C: BEFE0114
	global_atomic_add_f32 v6, v47, s[8:9] offset:8             // 000000007DA0: DD348008 00082F06
	global_atomic_add_f32 v6, v51, s[8:9] offset:264           // 000000007DA8: DD348108 00083306
	s_mov_b64 exec, s[36:37]                                   // 000000007DB0: BEFE0124
	v_mov_b32_e32 v6, v40                                      // 000000007DB4: 7E0C0328
	s_mov_b64 s[60:61], 0                                      // 000000007DB8: BEBC0180
	v_readlane_b32 s82, v3, 4                                  // 000000007DBC: D2890052 00010903
	s_and_b32 s82, s82, 0xffffff                               // 000000007DC4: 8652FF52 00FFFFFF
	s_cmp_lt_u32 s82, s66                                      // 000000007DCC: BF0A4252
	s_cselect_b32 s20, s36, s60                                // 000000007DD0: 85143C24
	v_readlane_b32 s82, v3, 5                                  // 000000007DD4: D2890052 00010B03
	s_and_b32 s82, s82, 0xffffff                               // 000000007DDC: 8652FF52 00FFFFFF
	s_cmp_lt_u32 s82, s66                                      // 000000007DE4: BF0A4252
	s_cselect_b32 s21, s36, s60                                // 000000007DE8: 85153C24
	s_mov_b64 exec, s[20:21]                                   // 000000007DEC: BEFE0114
	global_atomic_add_f32 v6, v54, s[8:9] offset:8             // 000000007DF0: DD348008 00083606
	global_atomic_add_f32 v6, v58, s[8:9] offset:264           // 000000007DF8: DD348108 00083A06
	s_mov_b64 exec, s[36:37]                                   // 000000007E00: BEFE0124
	v_mov_b32_e32 v6, v41                                      // 000000007E04: 7E0C0329
	s_mov_b64 s[60:61], 0                                      // 000000007E08: BEBC0180
	v_readlane_b32 s82, v3, 6                                  // 000000007E0C: D2890052 00010D03
	s_and_b32 s82, s82, 0xffffff                               // 000000007E14: 8652FF52 00FFFFFF
	s_cmp_lt_u32 s82, s66                                      // 000000007E1C: BF0A4252
	s_cselect_b32 s20, s36, s60                                // 000000007E20: 85143C24
	v_readlane_b32 s82, v3, 7                                  // 000000007E24: D2890052 00010F03
	s_and_b32 s82, s82, 0xffffff                               // 000000007E2C: 8652FF52 00FFFFFF
	s_cmp_lt_u32 s82, s66                                      // 000000007E34: BF0A4252
	s_cselect_b32 s21, s36, s60                                // 000000007E38: 85153C24
	s_mov_b64 exec, s[20:21]                                   // 000000007E3C: BEFE0114
	global_atomic_add_f32 v6, v55, s[8:9] offset:8             // 000000007E40: DD348008 00083706
	global_atomic_add_f32 v6, v59, s[8:9] offset:264           // 000000007E48: DD348108 00083B06
	s_mov_b64 exec, s[36:37]                                   // 000000007E50: BEFE0124
	ds_write_b64 v20, v[60:61]                                 // 000000007E54: D89A0000 00003C14
	ds_write_b64 v20, v[64:65] offset:4352                     // 000000007E5C: D89A1100 00004014
	ds_write_b64 v20, v[68:69] offset:2176                     // 000000007E64: D89A0880 00004414
	ds_write_b64 v20, v[72:73] offset:6528                     // 000000007E6C: D89A1980 00004814
	s_waitcnt lgkmcnt(0)                                       // 000000007E74: BF8CC07F
	s_barrier                                                  // 000000007E78: BF8A0000
	ds_read_b32 v60, v21                                       // 000000007E7C: D86C0000 3C000015
	ds_read_b32 v61, v21 offset:64                             // 000000007E84: D86C0040 3D000015
	ds_read_b32 v64, v21 offset:2176                           // 000000007E8C: D86C0880 40000015
	ds_read_b32 v65, v21 offset:2240                           // 000000007E94: D86C08C0 41000015
	ds_read_b32 v68, v21 offset:4352                           // 000000007E9C: D86C1100 44000015
	ds_read_b32 v69, v21 offset:4416                           // 000000007EA4: D86C1140 45000015
	ds_read_b32 v72, v21 offset:6528                           // 000000007EAC: D86C1980 48000015
	ds_read_b32 v73, v21 offset:6592                           // 000000007EB4: D86C19C0 49000015
	s_mul_i32 s60, s65, 4                                      // 000000007EBC: 923C8441
	s_add_u32 s8, s60, s8                                      // 000000007EC0: 8008083C
	s_addc_u32 s9, 0, s9                                       // 000000007EC4: 82090980
	s_waitcnt lgkmcnt(0)                                       // 000000007EC8: BF8CC07F
	v_mov_b32_e32 v7, 0                                        // 000000007ECC: 7E0E0280
	s_mov_b64 exec, s[36:37]                                   // 000000007ED0: BEFE0124
	v_mov_b32_e32 v6, v38                                      // 000000007ED4: 7E0C0326
	s_mov_b64 s[60:61], 0                                      // 000000007ED8: BEBC0180
	v_readlane_b32 s82, v3, 0                                  // 000000007EDC: D2890052 00010103
	s_and_b32 s82, s82, 0xffffff                               // 000000007EE4: 8652FF52 00FFFFFF
	s_cmp_lt_u32 s82, s66                                      // 000000007EEC: BF0A4252
	s_cselect_b32 s20, s36, s60                                // 000000007EF0: 85143C24
	v_readlane_b32 s82, v3, 1                                  // 000000007EF4: D2890052 00010303
	s_and_b32 s82, s82, 0xffffff                               // 000000007EFC: 8652FF52 00FFFFFF
	s_cmp_lt_u32 s82, s66                                      // 000000007F04: BF0A4252
	s_cselect_b32 s21, s36, s60                                // 000000007F08: 85153C24
	s_mov_b64 exec, s[20:21]                                   // 000000007F0C: BEFE0114
	global_atomic_add_f32 v6, v60, s[8:9]                      // 000000007F10: DD348000 00083C06
	global_atomic_add_f32 v6, v64, s[8:9] offset:256           // 000000007F18: DD348100 00084006
	s_mov_b64 exec, s[36:37]                                   // 000000007F20: BEFE0124
	v_mov_b32_e32 v6, v39                                      // 000000007F24: 7E0C0327
	s_mov_b64 s[60:61], 0                                      // 000000007F28: BEBC0180
	v_readlane_b32 s82, v3, 2                                  // 000000007F2C: D2890052 00010503
	s_and_b32 s82, s82, 0xffffff                               // 000000007F34: 8652FF52 00FFFFFF
	s_cmp_lt_u32 s82, s66                                      // 000000007F3C: BF0A4252
	s_cselect_b32 s20, s36, s60                                // 000000007F40: 85143C24
	v_readlane_b32 s82, v3, 3                                  // 000000007F44: D2890052 00010703
	s_and_b32 s82, s82, 0xffffff                               // 000000007F4C: 8652FF52 00FFFFFF
	s_cmp_lt_u32 s82, s66                                      // 000000007F54: BF0A4252
	s_cselect_b32 s21, s36, s60                                // 000000007F58: 85153C24
	s_mov_b64 exec, s[20:21]                                   // 000000007F5C: BEFE0114
	global_atomic_add_f32 v6, v61, s[8:9]                      // 000000007F60: DD348000 00083D06
	global_atomic_add_f32 v6, v65, s[8:9] offset:256           // 000000007F68: DD348100 00084106
	s_mov_b64 exec, s[36:37]                                   // 000000007F70: BEFE0124
	v_mov_b32_e32 v6, v40                                      // 000000007F74: 7E0C0328
	s_mov_b64 s[60:61], 0                                      // 000000007F78: BEBC0180
	v_readlane_b32 s82, v3, 4                                  // 000000007F7C: D2890052 00010903
	s_and_b32 s82, s82, 0xffffff                               // 000000007F84: 8652FF52 00FFFFFF
	s_cmp_lt_u32 s82, s66                                      // 000000007F8C: BF0A4252
	s_cselect_b32 s20, s36, s60                                // 000000007F90: 85143C24
	v_readlane_b32 s82, v3, 5                                  // 000000007F94: D2890052 00010B03
	s_and_b32 s82, s82, 0xffffff                               // 000000007F9C: 8652FF52 00FFFFFF
	s_cmp_lt_u32 s82, s66                                      // 000000007FA4: BF0A4252
	s_cselect_b32 s21, s36, s60                                // 000000007FA8: 85153C24
	s_mov_b64 exec, s[20:21]                                   // 000000007FAC: BEFE0114
	global_atomic_add_f32 v6, v68, s[8:9]                      // 000000007FB0: DD348000 00084406
	global_atomic_add_f32 v6, v72, s[8:9] offset:256           // 000000007FB8: DD348100 00084806
	s_mov_b64 exec, s[36:37]                                   // 000000007FC0: BEFE0124
	v_mov_b32_e32 v6, v41                                      // 000000007FC4: 7E0C0329
	s_mov_b64 s[60:61], 0                                      // 000000007FC8: BEBC0180
	v_readlane_b32 s82, v3, 6                                  // 000000007FCC: D2890052 00010D03
	s_and_b32 s82, s82, 0xffffff                               // 000000007FD4: 8652FF52 00FFFFFF
	s_cmp_lt_u32 s82, s66                                      // 000000007FDC: BF0A4252
	s_cselect_b32 s20, s36, s60                                // 000000007FE0: 85143C24
	v_readlane_b32 s82, v3, 7                                  // 000000007FE4: D2890052 00010F03
	s_and_b32 s82, s82, 0xffffff                               // 000000007FEC: 8652FF52 00FFFFFF
	s_cmp_lt_u32 s82, s66                                      // 000000007FF4: BF0A4252
	s_cselect_b32 s21, s36, s60                                // 000000007FF8: 85153C24
	s_mov_b64 exec, s[20:21]                                   // 000000007FFC: BEFE0114
	global_atomic_add_f32 v6, v69, s[8:9]                      // 000000008000: DD348000 00084506
	global_atomic_add_f32 v6, v73, s[8:9] offset:256           // 000000008008: DD348100 00084906
	s_mov_b64 exec, s[36:37]                                   // 000000008010: BEFE0124
	ds_write_b64 v20, v[62:63]                                 // 000000008014: D89A0000 00003E14
	ds_write_b64 v20, v[66:67] offset:4352                     // 00000000801C: D89A1100 00004214
	ds_write_b64 v20, v[70:71] offset:2176                     // 000000008024: D89A0880 00004614
	ds_write_b64 v20, v[74:75] offset:6528                     // 00000000802C: D89A1980 00004A14
	s_waitcnt lgkmcnt(0)                                       // 000000008034: BF8CC07F
	s_barrier                                                  // 000000008038: BF8A0000
	ds_read_b32 v62, v21                                       // 00000000803C: D86C0000 3E000015
	ds_read_b32 v63, v21 offset:64                             // 000000008044: D86C0040 3F000015
	ds_read_b32 v66, v21 offset:2176                           // 00000000804C: D86C0880 42000015
	ds_read_b32 v67, v21 offset:2240                           // 000000008054: D86C08C0 43000015
	ds_read_b32 v70, v21 offset:4352                           // 00000000805C: D86C1100 46000015
	ds_read_b32 v71, v21 offset:4416                           // 000000008064: D86C1140 47000015
	ds_read_b32 v74, v21 offset:6528                           // 00000000806C: D86C1980 4A000015
	ds_read_b32 v75, v21 offset:6592                           // 000000008074: D86C19C0 4B000015
	s_waitcnt lgkmcnt(0)                                       // 00000000807C: BF8CC07F
	v_mov_b32_e32 v7, 0                                        // 000000008080: 7E0E0280
	s_mov_b64 exec, s[36:37]                                   // 000000008084: BEFE0124
	v_mov_b32_e32 v6, v38                                      // 000000008088: 7E0C0326
	s_mov_b64 s[60:61], 0                                      // 00000000808C: BEBC0180
	v_readlane_b32 s82, v3, 0                                  // 000000008090: D2890052 00010103
	s_and_b32 s82, s82, 0xffffff                               // 000000008098: 8652FF52 00FFFFFF
	s_cmp_lt_u32 s82, s66                                      // 0000000080A0: BF0A4252
	s_cselect_b32 s20, s36, s60                                // 0000000080A4: 85143C24
	v_readlane_b32 s82, v3, 1                                  // 0000000080A8: D2890052 00010303
	s_and_b32 s82, s82, 0xffffff                               // 0000000080B0: 8652FF52 00FFFFFF
	s_cmp_lt_u32 s82, s66                                      // 0000000080B8: BF0A4252
	s_cselect_b32 s21, s36, s60                                // 0000000080BC: 85153C24
	s_mov_b64 exec, s[20:21]                                   // 0000000080C0: BEFE0114
	global_atomic_add_f32 v6, v62, s[8:9] offset:8             // 0000000080C4: DD348008 00083E06
	global_atomic_add_f32 v6, v66, s[8:9] offset:264           // 0000000080CC: DD348108 00084206
	s_mov_b64 exec, s[36:37]                                   // 0000000080D4: BEFE0124
	v_mov_b32_e32 v6, v39                                      // 0000000080D8: 7E0C0327
	s_mov_b64 s[60:61], 0                                      // 0000000080DC: BEBC0180
	v_readlane_b32 s82, v3, 2                                  // 0000000080E0: D2890052 00010503
	s_and_b32 s82, s82, 0xffffff                               // 0000000080E8: 8652FF52 00FFFFFF
	s_cmp_lt_u32 s82, s66                                      // 0000000080F0: BF0A4252
	s_cselect_b32 s20, s36, s60                                // 0000000080F4: 85143C24
	v_readlane_b32 s82, v3, 3                                  // 0000000080F8: D2890052 00010703
	s_and_b32 s82, s82, 0xffffff                               // 000000008100: 8652FF52 00FFFFFF
	s_cmp_lt_u32 s82, s66                                      // 000000008108: BF0A4252
	s_cselect_b32 s21, s36, s60                                // 00000000810C: 85153C24
	s_mov_b64 exec, s[20:21]                                   // 000000008110: BEFE0114
	global_atomic_add_f32 v6, v63, s[8:9] offset:8             // 000000008114: DD348008 00083F06
	global_atomic_add_f32 v6, v67, s[8:9] offset:264           // 00000000811C: DD348108 00084306
	s_mov_b64 exec, s[36:37]                                   // 000000008124: BEFE0124
	v_mov_b32_e32 v6, v40                                      // 000000008128: 7E0C0328
	s_mov_b64 s[60:61], 0                                      // 00000000812C: BEBC0180
	v_readlane_b32 s82, v3, 4                                  // 000000008130: D2890052 00010903
	s_and_b32 s82, s82, 0xffffff                               // 000000008138: 8652FF52 00FFFFFF
	s_cmp_lt_u32 s82, s66                                      // 000000008140: BF0A4252
	s_cselect_b32 s20, s36, s60                                // 000000008144: 85143C24
	v_readlane_b32 s82, v3, 5                                  // 000000008148: D2890052 00010B03
	s_and_b32 s82, s82, 0xffffff                               // 000000008150: 8652FF52 00FFFFFF
	s_cmp_lt_u32 s82, s66                                      // 000000008158: BF0A4252
	s_cselect_b32 s21, s36, s60                                // 00000000815C: 85153C24
	s_mov_b64 exec, s[20:21]                                   // 000000008160: BEFE0114
	global_atomic_add_f32 v6, v70, s[8:9] offset:8             // 000000008164: DD348008 00084606
	global_atomic_add_f32 v6, v74, s[8:9] offset:264           // 00000000816C: DD348108 00084A06
	s_mov_b64 exec, s[36:37]                                   // 000000008174: BEFE0124
	v_mov_b32_e32 v6, v41                                      // 000000008178: 7E0C0329
	s_mov_b64 s[60:61], 0                                      // 00000000817C: BEBC0180
	v_readlane_b32 s82, v3, 6                                  // 000000008180: D2890052 00010D03
	s_and_b32 s82, s82, 0xffffff                               // 000000008188: 8652FF52 00FFFFFF
	s_cmp_lt_u32 s82, s66                                      // 000000008190: BF0A4252
	s_cselect_b32 s20, s36, s60                                // 000000008194: 85143C24
	v_readlane_b32 s82, v3, 7                                  // 000000008198: D2890052 00010F03
	s_and_b32 s82, s82, 0xffffff                               // 0000000081A0: 8652FF52 00FFFFFF
	s_cmp_lt_u32 s82, s66                                      // 0000000081A8: BF0A4252
	s_cselect_b32 s21, s36, s60                                // 0000000081AC: 85153C24
	s_mov_b64 exec, s[20:21]                                   // 0000000081B0: BEFE0114
	global_atomic_add_f32 v6, v71, s[8:9] offset:8             // 0000000081B4: DD348008 00084706
	global_atomic_add_f32 v6, v75, s[8:9] offset:264           // 0000000081BC: DD348108 00084B06
	s_mov_b64 exec, s[36:37]                                   // 0000000081C4: BEFE0124
	s_branch label_15F6                                        // 0000000081C8: BF820000

00000000000081cc <label_15F6>:
	s_waitcnt vmcnt(0) expcnt(0) lgkmcnt(0)                    // 0000000081CC: BF8C0000
	s_endpgm                                                   // 0000000081D0: BF810000
